;; amdgpu-corpus repo=ROCm/rocFFT kind=compiled arch=gfx1201 opt=O3
	.text
	.amdgcn_target "amdgcn-amd-amdhsa--gfx1201"
	.amdhsa_code_object_version 6
	.protected	fft_rtc_back_len272_factors_16_17_wgs_119_tpt_17_halfLds_dp_ip_CI_unitstride_sbrr_dirReg ; -- Begin function fft_rtc_back_len272_factors_16_17_wgs_119_tpt_17_halfLds_dp_ip_CI_unitstride_sbrr_dirReg
	.globl	fft_rtc_back_len272_factors_16_17_wgs_119_tpt_17_halfLds_dp_ip_CI_unitstride_sbrr_dirReg
	.p2align	8
	.type	fft_rtc_back_len272_factors_16_17_wgs_119_tpt_17_halfLds_dp_ip_CI_unitstride_sbrr_dirReg,@function
fft_rtc_back_len272_factors_16_17_wgs_119_tpt_17_halfLds_dp_ip_CI_unitstride_sbrr_dirReg: ; @fft_rtc_back_len272_factors_16_17_wgs_119_tpt_17_halfLds_dp_ip_CI_unitstride_sbrr_dirReg
; %bb.0:
	s_load_b128 s[4:7], s[0:1], 0x0
	v_mul_u32_u24_e32 v1, 0xf10, v0
	s_clause 0x1
	s_load_b64 s[8:9], s[0:1], 0x50
	s_load_b64 s[10:11], s[0:1], 0x18
	v_mov_b32_e32 v3, 0
	v_lshrrev_b32_e32 v1, 16, v1
	s_delay_alu instid0(VALU_DEP_1) | instskip(SKIP_1) | instid1(VALU_DEP_4)
	v_mad_co_u64_u32 v[66:67], null, ttmp9, 7, v[1:2]
	v_mov_b32_e32 v1, 0
	v_dual_mov_b32 v2, 0 :: v_dual_mov_b32 v67, v3
	s_delay_alu instid0(VALU_DEP_1) | instskip(SKIP_2) | instid1(VALU_DEP_1)
	v_dual_mov_b32 v7, v66 :: v_dual_mov_b32 v8, v67
	s_wait_kmcnt 0x0
	v_cmp_lt_u64_e64 s2, s[6:7], 2
	s_and_b32 vcc_lo, exec_lo, s2
	s_cbranch_vccnz .LBB0_8
; %bb.1:
	s_load_b64 s[2:3], s[0:1], 0x10
	v_mov_b32_e32 v1, 0
	v_dual_mov_b32 v2, 0 :: v_dual_mov_b32 v5, v66
	v_mov_b32_e32 v6, v67
	s_add_nc_u64 s[12:13], s[10:11], 8
	s_mov_b64 s[14:15], 1
	s_wait_kmcnt 0x0
	s_add_nc_u64 s[16:17], s[2:3], 8
	s_mov_b32 s3, 0
.LBB0_2:                                ; =>This Inner Loop Header: Depth=1
	s_load_b64 s[18:19], s[16:17], 0x0
                                        ; implicit-def: $vgpr7_vgpr8
	s_mov_b32 s2, exec_lo
	s_wait_kmcnt 0x0
	v_or_b32_e32 v4, s19, v6
	s_delay_alu instid0(VALU_DEP_1)
	v_cmpx_ne_u64_e32 0, v[3:4]
	s_wait_alu 0xfffe
	s_xor_b32 s20, exec_lo, s2
	s_cbranch_execz .LBB0_4
; %bb.3:                                ;   in Loop: Header=BB0_2 Depth=1
	s_cvt_f32_u32 s2, s18
	s_cvt_f32_u32 s21, s19
	s_sub_nc_u64 s[24:25], 0, s[18:19]
	s_wait_alu 0xfffe
	s_delay_alu instid0(SALU_CYCLE_1) | instskip(SKIP_1) | instid1(SALU_CYCLE_2)
	s_fmamk_f32 s2, s21, 0x4f800000, s2
	s_wait_alu 0xfffe
	v_s_rcp_f32 s2, s2
	s_delay_alu instid0(TRANS32_DEP_1) | instskip(SKIP_1) | instid1(SALU_CYCLE_2)
	s_mul_f32 s2, s2, 0x5f7ffffc
	s_wait_alu 0xfffe
	s_mul_f32 s21, s2, 0x2f800000
	s_wait_alu 0xfffe
	s_delay_alu instid0(SALU_CYCLE_2) | instskip(SKIP_1) | instid1(SALU_CYCLE_2)
	s_trunc_f32 s21, s21
	s_wait_alu 0xfffe
	s_fmamk_f32 s2, s21, 0xcf800000, s2
	s_cvt_u32_f32 s23, s21
	s_wait_alu 0xfffe
	s_delay_alu instid0(SALU_CYCLE_1) | instskip(SKIP_1) | instid1(SALU_CYCLE_2)
	s_cvt_u32_f32 s22, s2
	s_wait_alu 0xfffe
	s_mul_u64 s[26:27], s[24:25], s[22:23]
	s_wait_alu 0xfffe
	s_mul_hi_u32 s29, s22, s27
	s_mul_i32 s28, s22, s27
	s_mul_hi_u32 s2, s22, s26
	s_mul_i32 s30, s23, s26
	s_wait_alu 0xfffe
	s_add_nc_u64 s[28:29], s[2:3], s[28:29]
	s_mul_hi_u32 s21, s23, s26
	s_mul_hi_u32 s31, s23, s27
	s_add_co_u32 s2, s28, s30
	s_wait_alu 0xfffe
	s_add_co_ci_u32 s2, s29, s21
	s_mul_i32 s26, s23, s27
	s_add_co_ci_u32 s27, s31, 0
	s_wait_alu 0xfffe
	s_add_nc_u64 s[26:27], s[2:3], s[26:27]
	s_wait_alu 0xfffe
	v_add_co_u32 v4, s2, s22, s26
	s_delay_alu instid0(VALU_DEP_1) | instskip(SKIP_1) | instid1(VALU_DEP_1)
	s_cmp_lg_u32 s2, 0
	s_add_co_ci_u32 s23, s23, s27
	v_readfirstlane_b32 s22, v4
	s_wait_alu 0xfffe
	s_delay_alu instid0(VALU_DEP_1)
	s_mul_u64 s[24:25], s[24:25], s[22:23]
	s_wait_alu 0xfffe
	s_mul_hi_u32 s27, s22, s25
	s_mul_i32 s26, s22, s25
	s_mul_hi_u32 s2, s22, s24
	s_mul_i32 s28, s23, s24
	s_wait_alu 0xfffe
	s_add_nc_u64 s[26:27], s[2:3], s[26:27]
	s_mul_hi_u32 s21, s23, s24
	s_mul_hi_u32 s22, s23, s25
	s_wait_alu 0xfffe
	s_add_co_u32 s2, s26, s28
	s_add_co_ci_u32 s2, s27, s21
	s_mul_i32 s24, s23, s25
	s_add_co_ci_u32 s25, s22, 0
	s_wait_alu 0xfffe
	s_add_nc_u64 s[24:25], s[2:3], s[24:25]
	s_wait_alu 0xfffe
	v_add_co_u32 v4, s2, v4, s24
	s_delay_alu instid0(VALU_DEP_1) | instskip(SKIP_1) | instid1(VALU_DEP_1)
	s_cmp_lg_u32 s2, 0
	s_add_co_ci_u32 s2, s23, s25
	v_mul_hi_u32 v13, v5, v4
	s_wait_alu 0xfffe
	v_mad_co_u64_u32 v[7:8], null, v5, s2, 0
	v_mad_co_u64_u32 v[9:10], null, v6, v4, 0
	;; [unrolled: 1-line block ×3, first 2 shown]
	s_delay_alu instid0(VALU_DEP_3) | instskip(SKIP_1) | instid1(VALU_DEP_4)
	v_add_co_u32 v4, vcc_lo, v13, v7
	s_wait_alu 0xfffd
	v_add_co_ci_u32_e32 v7, vcc_lo, 0, v8, vcc_lo
	s_delay_alu instid0(VALU_DEP_2) | instskip(SKIP_1) | instid1(VALU_DEP_2)
	v_add_co_u32 v4, vcc_lo, v4, v9
	s_wait_alu 0xfffd
	v_add_co_ci_u32_e32 v4, vcc_lo, v7, v10, vcc_lo
	s_wait_alu 0xfffd
	v_add_co_ci_u32_e32 v7, vcc_lo, 0, v12, vcc_lo
	s_delay_alu instid0(VALU_DEP_2) | instskip(SKIP_1) | instid1(VALU_DEP_2)
	v_add_co_u32 v4, vcc_lo, v4, v11
	s_wait_alu 0xfffd
	v_add_co_ci_u32_e32 v9, vcc_lo, 0, v7, vcc_lo
	s_delay_alu instid0(VALU_DEP_2) | instskip(SKIP_1) | instid1(VALU_DEP_3)
	v_mul_lo_u32 v10, s19, v4
	v_mad_co_u64_u32 v[7:8], null, s18, v4, 0
	v_mul_lo_u32 v11, s18, v9
	s_delay_alu instid0(VALU_DEP_2) | instskip(NEXT) | instid1(VALU_DEP_2)
	v_sub_co_u32 v7, vcc_lo, v5, v7
	v_add3_u32 v8, v8, v11, v10
	s_delay_alu instid0(VALU_DEP_1) | instskip(SKIP_1) | instid1(VALU_DEP_1)
	v_sub_nc_u32_e32 v10, v6, v8
	s_wait_alu 0xfffd
	v_subrev_co_ci_u32_e64 v10, s2, s19, v10, vcc_lo
	v_add_co_u32 v11, s2, v4, 2
	s_wait_alu 0xf1ff
	v_add_co_ci_u32_e64 v12, s2, 0, v9, s2
	v_sub_co_u32 v13, s2, v7, s18
	v_sub_co_ci_u32_e32 v8, vcc_lo, v6, v8, vcc_lo
	s_wait_alu 0xf1ff
	v_subrev_co_ci_u32_e64 v10, s2, 0, v10, s2
	s_delay_alu instid0(VALU_DEP_3) | instskip(NEXT) | instid1(VALU_DEP_3)
	v_cmp_le_u32_e32 vcc_lo, s18, v13
	v_cmp_eq_u32_e64 s2, s19, v8
	s_wait_alu 0xfffd
	v_cndmask_b32_e64 v13, 0, -1, vcc_lo
	v_cmp_le_u32_e32 vcc_lo, s19, v10
	s_wait_alu 0xfffd
	v_cndmask_b32_e64 v14, 0, -1, vcc_lo
	v_cmp_le_u32_e32 vcc_lo, s18, v7
	;; [unrolled: 3-line block ×3, first 2 shown]
	s_wait_alu 0xfffd
	v_cndmask_b32_e64 v15, 0, -1, vcc_lo
	v_cmp_eq_u32_e32 vcc_lo, s19, v10
	s_wait_alu 0xf1ff
	s_delay_alu instid0(VALU_DEP_2)
	v_cndmask_b32_e64 v7, v15, v7, s2
	s_wait_alu 0xfffd
	v_cndmask_b32_e32 v10, v14, v13, vcc_lo
	v_add_co_u32 v13, vcc_lo, v4, 1
	s_wait_alu 0xfffd
	v_add_co_ci_u32_e32 v14, vcc_lo, 0, v9, vcc_lo
	s_delay_alu instid0(VALU_DEP_3) | instskip(SKIP_2) | instid1(VALU_DEP_3)
	v_cmp_ne_u32_e32 vcc_lo, 0, v10
	s_wait_alu 0xfffd
	v_cndmask_b32_e32 v10, v13, v11, vcc_lo
	v_cndmask_b32_e32 v8, v14, v12, vcc_lo
	v_cmp_ne_u32_e32 vcc_lo, 0, v7
	s_wait_alu 0xfffd
	s_delay_alu instid0(VALU_DEP_2)
	v_dual_cndmask_b32 v7, v4, v10 :: v_dual_cndmask_b32 v8, v9, v8
.LBB0_4:                                ;   in Loop: Header=BB0_2 Depth=1
	s_wait_alu 0xfffe
	s_and_not1_saveexec_b32 s2, s20
	s_cbranch_execz .LBB0_6
; %bb.5:                                ;   in Loop: Header=BB0_2 Depth=1
	v_cvt_f32_u32_e32 v4, s18
	s_sub_co_i32 s20, 0, s18
	s_delay_alu instid0(VALU_DEP_1) | instskip(NEXT) | instid1(TRANS32_DEP_1)
	v_rcp_iflag_f32_e32 v4, v4
	v_mul_f32_e32 v4, 0x4f7ffffe, v4
	s_delay_alu instid0(VALU_DEP_1) | instskip(SKIP_1) | instid1(VALU_DEP_1)
	v_cvt_u32_f32_e32 v4, v4
	s_wait_alu 0xfffe
	v_mul_lo_u32 v7, s20, v4
	s_delay_alu instid0(VALU_DEP_1) | instskip(NEXT) | instid1(VALU_DEP_1)
	v_mul_hi_u32 v7, v4, v7
	v_add_nc_u32_e32 v4, v4, v7
	s_delay_alu instid0(VALU_DEP_1) | instskip(NEXT) | instid1(VALU_DEP_1)
	v_mul_hi_u32 v4, v5, v4
	v_mul_lo_u32 v7, v4, s18
	v_add_nc_u32_e32 v8, 1, v4
	s_delay_alu instid0(VALU_DEP_2) | instskip(NEXT) | instid1(VALU_DEP_1)
	v_sub_nc_u32_e32 v7, v5, v7
	v_subrev_nc_u32_e32 v9, s18, v7
	v_cmp_le_u32_e32 vcc_lo, s18, v7
	s_wait_alu 0xfffd
	s_delay_alu instid0(VALU_DEP_2) | instskip(NEXT) | instid1(VALU_DEP_1)
	v_dual_cndmask_b32 v7, v7, v9 :: v_dual_cndmask_b32 v4, v4, v8
	v_cmp_le_u32_e32 vcc_lo, s18, v7
	s_delay_alu instid0(VALU_DEP_2) | instskip(SKIP_1) | instid1(VALU_DEP_1)
	v_add_nc_u32_e32 v8, 1, v4
	s_wait_alu 0xfffd
	v_dual_cndmask_b32 v7, v4, v8 :: v_dual_mov_b32 v8, v3
.LBB0_6:                                ;   in Loop: Header=BB0_2 Depth=1
	s_wait_alu 0xfffe
	s_or_b32 exec_lo, exec_lo, s2
	s_load_b64 s[20:21], s[12:13], 0x0
	s_delay_alu instid0(VALU_DEP_1)
	v_mul_lo_u32 v4, v8, s18
	v_mul_lo_u32 v11, v7, s19
	v_mad_co_u64_u32 v[9:10], null, v7, s18, 0
	s_add_nc_u64 s[14:15], s[14:15], 1
	s_add_nc_u64 s[12:13], s[12:13], 8
	s_wait_alu 0xfffe
	v_cmp_ge_u64_e64 s2, s[14:15], s[6:7]
	s_add_nc_u64 s[16:17], s[16:17], 8
	s_delay_alu instid0(VALU_DEP_2) | instskip(NEXT) | instid1(VALU_DEP_3)
	v_add3_u32 v4, v10, v11, v4
	v_sub_co_u32 v5, vcc_lo, v5, v9
	s_wait_alu 0xfffd
	s_delay_alu instid0(VALU_DEP_2) | instskip(SKIP_3) | instid1(VALU_DEP_2)
	v_sub_co_ci_u32_e32 v4, vcc_lo, v6, v4, vcc_lo
	s_and_b32 vcc_lo, exec_lo, s2
	s_wait_kmcnt 0x0
	v_mul_lo_u32 v6, s21, v5
	v_mul_lo_u32 v4, s20, v4
	v_mad_co_u64_u32 v[1:2], null, s20, v5, v[1:2]
	s_delay_alu instid0(VALU_DEP_1)
	v_add3_u32 v2, v6, v2, v4
	s_wait_alu 0xfffe
	s_cbranch_vccnz .LBB0_8
; %bb.7:                                ;   in Loop: Header=BB0_2 Depth=1
	v_dual_mov_b32 v5, v7 :: v_dual_mov_b32 v6, v8
	s_branch .LBB0_2
.LBB0_8:
	s_lshl_b64 s[2:3], s[6:7], 3
	v_mul_hi_u32 v5, 0xf0f0f10, v0
	s_wait_alu 0xfffe
	s_add_nc_u64 s[2:3], s[10:11], s[2:3]
                                        ; implicit-def: $vgpr20_vgpr21
                                        ; implicit-def: $vgpr24_vgpr25
                                        ; implicit-def: $vgpr12_vgpr13
                                        ; implicit-def: $vgpr16_vgpr17
                                        ; implicit-def: $vgpr32_vgpr33
                                        ; implicit-def: $vgpr28_vgpr29
                                        ; implicit-def: $vgpr44_vgpr45
                                        ; implicit-def: $vgpr48_vgpr49
                                        ; implicit-def: $vgpr52_vgpr53
                                        ; implicit-def: $vgpr56_vgpr57
                                        ; implicit-def: $vgpr60_vgpr61
                                        ; implicit-def: $vgpr64_vgpr65
                                        ; implicit-def: $vgpr40_vgpr41
                                        ; implicit-def: $vgpr36_vgpr37
	s_load_b64 s[2:3], s[2:3], 0x0
	s_load_b64 s[0:1], s[0:1], 0x20
	s_wait_kmcnt 0x0
	v_mul_lo_u32 v3, s2, v8
	v_mul_lo_u32 v4, s3, v7
	v_mad_co_u64_u32 v[1:2], null, s2, v7, v[1:2]
	v_cmp_gt_u64_e32 vcc_lo, s[0:1], v[7:8]
                                        ; implicit-def: $vgpr8_vgpr9
	s_delay_alu instid0(VALU_DEP_2) | instskip(SKIP_1) | instid1(VALU_DEP_2)
	v_add3_u32 v2, v4, v2, v3
	v_mul_u32_u24_e32 v3, 17, v5
	v_lshlrev_b64_e32 v[74:75], 4, v[1:2]
	s_delay_alu instid0(VALU_DEP_2)
	v_sub_nc_u32_e32 v72, v0, v3
                                        ; implicit-def: $vgpr2_vgpr3
	s_and_saveexec_b32 s1, vcc_lo
; %bb.9:
	v_mov_b32_e32 v73, 0
	s_delay_alu instid0(VALU_DEP_3) | instskip(SKIP_2) | instid1(VALU_DEP_3)
	v_add_co_u32 v2, s0, s8, v74
	s_wait_alu 0xf1ff
	v_add_co_ci_u32_e64 v3, s0, s9, v75, s0
	v_lshlrev_b64_e32 v[0:1], 4, v[72:73]
	s_delay_alu instid0(VALU_DEP_1) | instskip(SKIP_1) | instid1(VALU_DEP_2)
	v_add_co_u32 v4, s0, v2, v0
	s_wait_alu 0xf1ff
	v_add_co_ci_u32_e64 v5, s0, v3, v1, s0
	s_clause 0xf
	global_load_b128 v[6:9], v[4:5], off
	global_load_b128 v[0:3], v[4:5], off offset:272
	global_load_b128 v[18:21], v[4:5], off offset:544
	;; [unrolled: 1-line block ×15, first 2 shown]
; %bb.10:
	s_wait_alu 0xfffe
	s_or_b32 exec_lo, exec_lo, s1
	s_wait_loadcnt 0x7
	v_add_f64_e64 v[4:5], v[6:7], -v[26:27]
	s_wait_loadcnt 0x1
	v_add_f64_e64 v[26:27], v[36:37], -v[60:61]
	v_add_f64_e64 v[60:61], v[0:1], -v[38:39]
	;; [unrolled: 1-line block ×4, first 2 shown]
	s_wait_loadcnt 0x0
	v_add_f64_e64 v[52:53], v[32:33], -v[64:65]
	v_add_f64_e64 v[64:65], v[16:17], -v[56:57]
	;; [unrolled: 1-line block ×10, first 2 shown]
	s_mov_b32 s0, 0x667f3bcd
	s_mov_b32 s1, 0x3fe6a09e
	;; [unrolled: 1-line block ×3, first 2 shown]
	s_wait_alu 0xfffe
	s_mov_b32 s14, s0
	s_mov_b32 s2, 0xcf328d46
	;; [unrolled: 1-line block ×7, first 2 shown]
	s_wait_alu 0xfffe
	s_mov_b32 s10, s2
	s_mov_b32 s6, s12
	v_lshlrev_b32_e32 v73, 3, v72
	v_fma_f64 v[6:7], v[6:7], 2.0, -v[4:5]
	v_fma_f64 v[0:1], v[0:1], 2.0, -v[60:61]
	v_add_f64_e32 v[62:63], v[38:39], v[4:5]
	v_add_f64_e32 v[78:79], v[42:43], v[26:27]
	v_fma_f64 v[32:33], v[32:33], 2.0, -v[52:53]
	v_add_f64_e32 v[67:68], v[64:65], v[60:61]
	v_add_f64_e32 v[69:70], v[46:47], v[52:53]
	v_fma_f64 v[76:77], v[10:11], 2.0, -v[56:57]
	v_fma_f64 v[10:11], v[20:21], 2.0, -v[44:45]
	;; [unrolled: 1-line block ×9, first 2 shown]
	v_add_f64_e64 v[50:51], v[40:41], -v[50:51]
	v_add_f64_e64 v[52:53], v[44:45], -v[54:55]
	;; [unrolled: 1-line block ×3, first 2 shown]
	v_fma_f64 v[2:3], v[2:3], 2.0, -v[40:41]
	v_fma_f64 v[16:17], v[16:17], 2.0, -v[64:65]
	;; [unrolled: 1-line block ×4, first 2 shown]
	v_mul_f64_e32 v[88:89], s[0:1], v[78:79]
	v_fma_f64 v[42:43], v[60:61], 2.0, -v[67:68]
	v_fma_f64 v[46:47], v[46:47], 2.0, -v[69:70]
	v_add_f64_e64 v[58:59], v[6:7], -v[76:77]
	v_add_f64_e64 v[14:15], v[10:11], -v[20:21]
	;; [unrolled: 1-line block ×3, first 2 shown]
	v_fma_f64 v[26:27], v[78:79], s[0:1], v[62:63]
	v_add_f64_e64 v[60:61], v[24:25], -v[32:33]
	v_add_f64_e64 v[30:31], v[18:19], -v[34:35]
	;; [unrolled: 1-line block ×3, first 2 shown]
	v_fma_f64 v[40:41], v[40:41], 2.0, -v[50:51]
	v_fma_f64 v[82:83], v[44:45], 2.0, -v[52:53]
	;; [unrolled: 1-line block ×3, first 2 shown]
	v_fma_f64 v[48:49], v[69:70], s[0:1], v[67:68]
	v_add_f64_e64 v[16:17], v[2:3], -v[16:17]
	v_fma_f64 v[64:65], v[54:55], s[0:1], v[50:51]
	v_mul_f64_e32 v[92:93], s[0:1], v[52:53]
	v_fma_f64 v[34:35], v[80:81], s[14:15], v[4:5]
	v_mul_f64_e32 v[90:91], s[0:1], v[80:81]
	v_fma_f64 v[44:45], v[46:47], s[14:15], v[42:43]
	v_fma_f64 v[6:7], v[6:7], 2.0, -v[58:59]
	v_add_f64_e32 v[86:87], v[14:15], v[58:59]
	v_fma_f64 v[0:1], v[0:1], 2.0, -v[20:21]
	v_fma_f64 v[26:27], v[52:53], s[0:1], v[26:27]
	v_add_f64_e32 v[96:97], v[60:61], v[20:21]
	v_fma_f64 v[18:19], v[18:19], 2.0, -v[30:31]
	v_fma_f64 v[22:23], v[22:23], 2.0, -v[36:37]
	v_fma_f64 v[84:85], v[32:33], s[14:15], v[40:41]
	v_add_f64_e64 v[98:99], v[16:17], -v[36:37]
	v_fma_f64 v[36:37], v[69:70], s[14:15], v[64:65]
	v_fma_f64 v[76:77], v[2:3], 2.0, -v[16:17]
	v_fma_f64 v[2:3], v[24:25], 2.0, -v[60:61]
	v_fma_f64 v[94:95], v[82:83], s[0:1], v[34:35]
	v_fma_f64 v[34:35], v[54:55], s[0:1], v[48:49]
	;; [unrolled: 1-line block ×3, first 2 shown]
	v_fma_f64 v[24:25], v[58:59], 2.0, -v[86:87]
	v_fma_f64 v[100:101], v[62:63], 2.0, -v[26:27]
	;; [unrolled: 1-line block ×3, first 2 shown]
	v_add_f64_e64 v[20:21], v[6:7], -v[18:19]
	v_mul_f64_e32 v[80:81], s[0:1], v[96:97]
	v_add_f64_e64 v[62:63], v[0:1], -v[22:23]
	v_fma_f64 v[64:65], v[46:47], s[14:15], v[84:85]
	v_fma_f64 v[104:105], v[16:17], 2.0, -v[98:99]
	v_add_f64_e64 v[84:85], v[76:77], -v[2:3]
	v_fma_f64 v[22:23], v[4:5], 2.0, -v[94:95]
	v_fma_f64 v[60:61], v[67:68], 2.0, -v[34:35]
	v_fma_f64 v[4:5], v[96:97], s[0:1], v[86:87]
	v_fma_f64 v[58:59], v[42:43], 2.0, -v[32:33]
	v_fma_f64 v[42:43], v[34:35], s[10:11], v[26:27]
	;; [unrolled: 2-line block ×3, first 2 shown]
	v_fma_f64 v[2:3], v[102:103], s[14:15], v[24:25]
	v_fma_f64 v[106:107], v[6:7], 2.0, -v[20:21]
	v_mul_f64_e32 v[78:79], s[0:1], v[102:103]
	v_fma_f64 v[0:1], v[0:1], 2.0, -v[62:63]
	v_fma_f64 v[69:70], v[40:41], 2.0, -v[64:65]
	v_add_f64_e32 v[16:17], v[84:85], v[20:21]
	s_wait_alu 0xfffe
	v_fma_f64 v[46:47], v[60:61], s[6:7], v[100:101]
	v_fma_f64 v[4:5], v[98:99], s[0:1], v[4:5]
	v_fma_f64 v[44:45], v[58:59], s[2:3], v[22:23]
	v_fma_f64 v[6:7], v[36:37], s[12:13], v[42:43]
	v_fma_f64 v[18:19], v[64:65], s[10:11], v[18:19]
	v_fma_f64 v[40:41], v[104:105], s[0:1], v[2:3]
	v_add_f64_e64 v[48:49], v[106:107], -v[0:1]
	v_mul_hi_u32 v0, 0x24924925, v66
	s_delay_alu instid0(VALU_DEP_1) | instskip(NEXT) | instid1(VALU_DEP_1)
	v_sub_nc_u32_e32 v1, v66, v0
	v_lshrrev_b32_e32 v1, 1, v1
	s_delay_alu instid0(VALU_DEP_1) | instskip(NEXT) | instid1(VALU_DEP_1)
	v_add_nc_u32_e32 v0, v1, v0
	v_lshrrev_b32_e32 v71, 2, v0
	v_fma_f64 v[42:43], v[67:68], s[10:11], v[46:47]
	v_fma_f64 v[52:53], v[86:87], 2.0, -v[4:5]
	v_fma_f64 v[50:51], v[69:70], s[12:13], v[44:45]
	v_fma_f64 v[44:45], v[20:21], 2.0, -v[16:17]
	v_fma_f64 v[54:55], v[26:27], 2.0, -v[6:7]
	;; [unrolled: 1-line block ×3, first 2 shown]
	v_mul_f64_e32 v[94:95], s[0:1], v[82:83]
	v_mul_f64_e32 v[86:87], s[0:1], v[98:99]
	v_fma_f64 v[20:21], v[24:25], 2.0, -v[40:41]
	v_mul_f64_e32 v[82:83], s[0:1], v[104:105]
	v_mul_lo_u32 v24, v71, 7
	v_fma_f64 v[0:1], v[106:107], 2.0, -v[48:49]
	v_cmp_gt_u32_e64 s0, 16, v72
                                        ; implicit-def: $vgpr26_vgpr27
	s_delay_alu instid0(VALU_DEP_3) | instskip(SKIP_1) | instid1(VALU_DEP_2)
	v_sub_nc_u32_e32 v25, v66, v24
	v_lshl_add_u32 v24, v72, 7, 0
	v_mul_u32_u24_e32 v25, 0x110, v25
	s_delay_alu instid0(VALU_DEP_1)
	v_lshl_add_u32 v97, v25, 3, v24
	v_lshlrev_b32_e32 v96, 3, v25
	v_fma_f64 v[2:3], v[22:23], 2.0, -v[50:51]
	v_fma_f64 v[22:23], v[100:101], 2.0, -v[42:43]
	ds_store_b128 v97, v[16:19] offset:96
	ds_store_b128 v97, v[4:7] offset:112
	;; [unrolled: 1-line block ×6, first 2 shown]
	ds_store_b128 v97, v[0:3]
	ds_store_b128 v97, v[20:23] offset:16
	global_wb scope:SCOPE_SE
	s_wait_dscnt 0x0
	s_barrier_signal -1
	s_barrier_wait -1
	global_inv scope:SCOPE_SE
	s_and_saveexec_b32 s1, s0
	s_cbranch_execz .LBB0_12
; %bb.11:
	v_mul_i32_i24_e32 v0, 0xffffff88, v72
	s_delay_alu instid0(VALU_DEP_1)
	v_add3_u32 v0, v24, v0, v96
	ds_load_2addr_b64 v[2:5], v0 offset0:16 offset1:32
	ds_load_2addr_b64 v[16:19], v0 offset0:48 offset1:64
	;; [unrolled: 1-line block ×6, first 2 shown]
	v_add_nc_u32_e32 v1, 0x400, v0
	s_wait_dscnt 0x5
	v_dual_mov_b32 v21, v5 :: v_dual_mov_b32 v20, v4
	ds_load_2addr_b64 v[106:109], v0 offset0:208 offset1:224
	ds_load_2addr_b64 v[24:27], v1 offset0:112 offset1:128
	v_add3_u32 v0, 0, v96, v73
	s_wait_dscnt 0x5
	v_dual_mov_b32 v45, v19 :: v_dual_mov_b32 v46, v50
	s_wait_dscnt 0x4
	v_mov_b32_e32 v55, v41
	v_dual_mov_b32 v47, v51 :: v_dual_mov_b32 v54, v40
	ds_load_b64 v[0:1], v0
	s_wait_dscnt 0x4
	v_dual_mov_b32 v49, v43 :: v_dual_mov_b32 v40, v100
	v_dual_mov_b32 v23, v17 :: v_dual_mov_b32 v44, v18
	;; [unrolled: 1-line block ×3, first 2 shown]
	s_wait_dscnt 0x3
	v_mov_b32_e32 v42, v102
	v_dual_mov_b32 v22, v16 :: v_dual_mov_b32 v43, v103
	v_dual_mov_b32 v16, v104 :: v_dual_mov_b32 v17, v105
	s_wait_dscnt 0x2
	v_dual_mov_b32 v18, v106 :: v_dual_mov_b32 v19, v107
	v_dual_mov_b32 v4, v108 :: v_dual_mov_b32 v5, v109
	;; [unrolled: 1-line block ×3, first 2 shown]
	s_wait_dscnt 0x1
	v_dual_mov_b32 v6, v24 :: v_dual_mov_b32 v7, v25
.LBB0_12:
	s_wait_alu 0xfffe
	s_or_b32 exec_lo, exec_lo, s1
	v_add_f64_e64 v[24:25], v[8:9], -v[28:29]
	v_fma_f64 v[12:13], v[12:13], 2.0, -v[38:39]
	v_fma_f64 v[10:11], v[10:11], 2.0, -v[14:15]
	global_wb scope:SCOPE_SE
	s_wait_dscnt 0x0
	s_barrier_signal -1
	s_barrier_wait -1
	global_inv scope:SCOPE_SE
	v_add_f64_e64 v[28:29], v[24:25], -v[56:57]
	v_fma_f64 v[8:9], v[8:9], 2.0, -v[24:25]
	s_delay_alu instid0(VALU_DEP_2) | instskip(NEXT) | instid1(VALU_DEP_2)
	v_fma_f64 v[24:25], v[24:25], 2.0, -v[28:29]
	v_add_f64_e64 v[12:13], v[8:9], -v[12:13]
	v_add_f64_e32 v[56:57], v[28:29], v[92:93]
	s_delay_alu instid0(VALU_DEP_3) | instskip(NEXT) | instid1(VALU_DEP_3)
	v_add_f64_e64 v[38:39], v[24:25], -v[94:95]
	v_fma_f64 v[8:9], v[8:9], 2.0, -v[12:13]
	v_add_f64_e64 v[92:93], v[12:13], -v[30:31]
	s_delay_alu instid0(VALU_DEP_4)
	v_add_f64_e64 v[88:89], v[56:57], -v[88:89]
	v_fma_f64 v[56:57], v[76:77], 2.0, -v[84:85]
	v_add_f64_e64 v[38:39], v[38:39], -v[90:91]
	v_add_f64_e64 v[10:11], v[8:9], -v[10:11]
	v_fma_f64 v[90:91], v[12:13], 2.0, -v[92:93]
	v_fma_f64 v[94:95], v[28:29], 2.0, -v[88:89]
	v_add_f64_e32 v[12:13], v[86:87], v[92:93]
	v_fma_f64 v[36:37], v[36:37], s[10:11], v[88:89]
	v_fma_f64 v[24:25], v[24:25], 2.0, -v[38:39]
	v_fma_f64 v[14:15], v[64:65], s[12:13], v[38:39]
	v_fma_f64 v[8:9], v[8:9], 2.0, -v[10:11]
	v_add_f64_e64 v[64:65], v[90:91], -v[82:83]
	v_fma_f64 v[66:67], v[67:68], s[6:7], v[94:95]
	v_add_f64_e64 v[28:29], v[10:11], -v[62:63]
	v_add_f64_e64 v[12:13], v[12:13], -v[80:81]
	v_fma_f64 v[70:71], v[69:70], s[2:3], v[24:25]
	v_fma_f64 v[30:31], v[32:33], s[2:3], v[14:15]
	;; [unrolled: 1-line block ×3, first 2 shown]
	v_add_f64_e64 v[68:69], v[8:9], -v[56:57]
	v_add_f64_e64 v[56:57], v[64:65], -v[78:79]
	v_fma_f64 v[64:65], v[92:93], 2.0, -v[12:13]
	v_fma_f64 v[70:71], v[58:59], s[6:7], v[70:71]
	v_fma_f64 v[58:59], v[60:61], s[2:3], v[66:67]
	v_fma_f64 v[60:61], v[10:11], 2.0, -v[28:29]
	v_fma_f64 v[62:63], v[38:39], 2.0, -v[30:31]
	;; [unrolled: 1-line block ×5, first 2 shown]
                                        ; implicit-def: $vgpr38_vgpr39
	v_fma_f64 v[10:11], v[24:25], 2.0, -v[70:71]
	v_fma_f64 v[34:35], v[94:95], 2.0, -v[58:59]
	ds_store_b128 v97, v[28:31] offset:96
	ds_store_b128 v97, v[12:15] offset:112
	;; [unrolled: 1-line block ×6, first 2 shown]
	ds_store_b128 v97, v[8:11]
	ds_store_b128 v97, v[32:35] offset:16
	global_wb scope:SCOPE_SE
	s_wait_dscnt 0x0
	s_barrier_signal -1
	s_barrier_wait -1
	global_inv scope:SCOPE_SE
	s_and_saveexec_b32 s1, s0
	s_cbranch_execnz .LBB0_15
; %bb.13:
	s_wait_alu 0xfffe
	s_or_b32 exec_lo, exec_lo, s1
	s_and_b32 s0, vcc_lo, s0
	s_wait_alu 0xfffe
	s_and_saveexec_b32 s1, s0
	s_cbranch_execnz .LBB0_16
.LBB0_14:
	s_endpgm
.LBB0_15:
	v_add3_u32 v8, 0, v73, v96
	ds_load_2addr_b64 v[10:13], v8 offset0:112 offset1:128
	ds_load_2addr_b64 v[32:35], v8 offset0:144 offset1:160
	;; [unrolled: 1-line block ×5, first 2 shown]
	v_add_nc_u32_e32 v9, 0x400, v8
	s_wait_dscnt 0x4
	v_dual_mov_b32 v67, v11 :: v_dual_mov_b32 v66, v10
	ds_load_2addr_b64 v[80:83], v8 offset0:48 offset1:64
	ds_load_2addr_b64 v[84:87], v8 offset0:16 offset1:32
	;; [unrolled: 1-line block ×3, first 2 shown]
	v_add3_u32 v8, 0, v96, v73
	s_wait_dscnt 0x5
	v_mov_b32_e32 v59, v29
	v_dual_mov_b32 v57, v35 :: v_dual_mov_b32 v58, v28
	v_mov_b32_e32 v28, v30
	ds_load_b64 v[8:9], v8
	v_dual_mov_b32 v69, v13 :: v_dual_mov_b32 v56, v34
	s_wait_dscnt 0x5
	v_dual_mov_b32 v29, v31 :: v_dual_mov_b32 v30, v60
	v_dual_mov_b32 v68, v12 :: v_dual_mov_b32 v31, v61
	v_dual_mov_b32 v12, v62 :: v_dual_mov_b32 v71, v33
	s_wait_dscnt 0x4
	v_dual_mov_b32 v64, v78 :: v_dual_mov_b32 v13, v63
	v_dual_mov_b32 v70, v32 :: v_dual_mov_b32 v65, v79
	;; [unrolled: 4-line block ×3, first 2 shown]
	s_wait_dscnt 0x2
	v_dual_mov_b32 v32, v86 :: v_dual_mov_b32 v33, v87
	s_wait_dscnt 0x1
	v_dual_mov_b32 v14, v36 :: v_dual_mov_b32 v15, v37
	v_dual_mov_b32 v10, v84 :: v_dual_mov_b32 v11, v85
	s_wait_alu 0xfffe
	s_or_b32 exec_lo, exec_lo, s1
	s_and_b32 s0, vcc_lo, s0
	s_wait_alu 0xfffe
	s_and_saveexec_b32 s1, s0
	s_cbranch_execz .LBB0_14
.LBB0_16:
	v_dual_mov_b32 v77, 0 :: v_dual_lshlrev_b32 v76, 4, v72
	s_mov_b32 s42, 0xeb564b22
	s_mov_b32 s22, 0x923c349f
	s_mov_b32 s36, 0x7c9e640b
	s_mov_b32 s20, 0x6c9a05f6
	v_lshlrev_b64_e32 v[24:25], 4, v[76:77]
	s_mov_b32 s38, 0x2a9d6da3
	s_mov_b32 s16, 0x4363dd80
	;; [unrolled: 1-line block ×5, first 2 shown]
	v_add_co_u32 v36, vcc_lo, s4, v24
	s_wait_alu 0xfffd
	v_add_co_ci_u32_e32 v37, vcc_lo, s5, v25, vcc_lo
	s_mov_b32 s23, 0xbfeec746
	s_mov_b32 s37, 0x3feca52d
	s_clause 0x3
	global_load_b128 v[80:83], v[36:37], off offset:112
	global_load_b128 v[84:87], v[36:37], off offset:96
	;; [unrolled: 1-line block ×4, first 2 shown]
	s_mov_b32 s21, 0xbfe9895b
	s_mov_b32 s39, 0x3fe58eea
	;; [unrolled: 1-line block ×30, first 2 shown]
	s_wait_alu 0xfffe
	s_mov_b32 s46, s20
	s_mov_b32 s45, 0x3feec746
	s_mov_b32 s44, s22
	s_mov_b32 s49, 0x3fe0d888
	s_mov_b32 s48, s16
	v_mov_b32_e32 v73, v77
	s_wait_loadcnt 0x3
	v_mul_f64_e32 v[24:25], v[68:69], v[82:83]
	s_delay_alu instid0(VALU_DEP_1) | instskip(SKIP_1) | instid1(VALU_DEP_1)
	v_fma_f64 v[78:79], v[48:49], v[80:81], v[24:25]
	v_mul_f64_e32 v[24:25], v[48:49], v[82:83]
	v_fma_f64 v[68:69], v[68:69], v[80:81], -v[24:25]
	s_wait_loadcnt 0x1
	v_mul_f64_e32 v[24:25], v[70:71], v[90:91]
	s_delay_alu instid0(VALU_DEP_1) | instskip(SKIP_1) | instid1(VALU_DEP_2)
	v_fma_f64 v[80:81], v[50:51], v[88:89], v[24:25]
	v_mul_f64_e32 v[24:25], v[50:51], v[90:91]
	v_add_f64_e64 v[182:183], v[78:79], -v[80:81]
	s_delay_alu instid0(VALU_DEP_2)
	v_fma_f64 v[70:71], v[70:71], v[88:89], -v[24:25]
	s_clause 0x1
	global_load_b128 v[48:51], v[36:37], off offset:80
	global_load_b128 v[88:91], v[36:37], off offset:64
	v_mul_f64_e32 v[24:25], v[66:67], v[86:87]
	v_add_f64_e32 v[154:155], v[78:79], v[80:81]
	v_mul_f64_e32 v[216:217], s[42:43], v[182:183]
	v_add_f64_e64 v[184:185], v[68:69], -v[70:71]
	s_delay_alu instid0(VALU_DEP_4) | instskip(SKIP_1) | instid1(VALU_DEP_3)
	v_fma_f64 v[82:83], v[54:55], v[84:85], v[24:25]
	v_mul_f64_e32 v[24:25], v[54:55], v[86:87]
	v_mul_f64_e32 v[218:219], s[42:43], v[184:185]
	s_delay_alu instid0(VALU_DEP_2) | instskip(SKIP_2) | instid1(VALU_DEP_1)
	v_fma_f64 v[54:55], v[66:67], v[84:85], -v[24:25]
	s_wait_loadcnt 0x1
	v_mul_f64_e32 v[24:25], v[64:65], v[50:51]
	v_fma_f64 v[66:67], v[52:53], v[48:49], v[24:25]
	v_mul_f64_e32 v[24:25], v[52:53], v[50:51]
	s_delay_alu instid0(VALU_DEP_1) | instskip(SKIP_1) | instid1(VALU_DEP_1)
	v_fma_f64 v[64:65], v[64:65], v[48:49], -v[24:25]
	v_mul_f64_e32 v[24:25], v[56:57], v[94:95]
	v_fma_f64 v[52:53], v[40:41], v[92:93], v[24:25]
	v_mul_f64_e32 v[24:25], v[40:41], v[94:95]
	s_clause 0x1
	global_load_b128 v[48:51], v[36:37], off offset:160
	global_load_b128 v[94:97], v[36:37], off offset:176
	v_add_f64_e64 v[178:179], v[82:83], -v[52:53]
	v_fma_f64 v[56:57], v[56:57], v[92:93], -v[24:25]
	s_delay_alu instid0(VALU_DEP_2) | instskip(NEXT) | instid1(VALU_DEP_2)
	v_mul_f64_e32 v[210:211], s[22:23], v[178:179]
	v_add_f64_e64 v[180:181], v[54:55], -v[56:57]
	s_delay_alu instid0(VALU_DEP_1) | instskip(SKIP_2) | instid1(VALU_DEP_1)
	v_mul_f64_e32 v[212:213], s[22:23], v[180:181]
	s_wait_loadcnt 0x1
	v_mul_f64_e32 v[24:25], v[58:59], v[50:51]
	v_fma_f64 v[84:85], v[42:43], v[48:49], v[24:25]
	v_mul_f64_e32 v[24:25], v[42:43], v[50:51]
	s_delay_alu instid0(VALU_DEP_2) | instskip(NEXT) | instid1(VALU_DEP_2)
	v_add_f64_e64 v[174:175], v[66:67], -v[84:85]
	v_fma_f64 v[58:59], v[58:59], v[48:49], -v[24:25]
	v_mul_f64_e32 v[24:25], v[62:63], v[90:91]
	s_delay_alu instid0(VALU_DEP_3) | instskip(NEXT) | instid1(VALU_DEP_3)
	v_mul_f64_e32 v[206:207], s[36:37], v[174:175]
	v_add_f64_e64 v[176:177], v[64:65], -v[58:59]
	s_delay_alu instid0(VALU_DEP_3)
	v_fma_f64 v[86:87], v[46:47], v[88:89], v[24:25]
	v_mul_f64_e32 v[24:25], v[46:47], v[90:91]
	s_clause 0x1
	global_load_b128 v[40:43], v[36:37], off offset:48
	global_load_b128 v[46:49], v[36:37], off offset:32
	v_mul_f64_e32 v[208:209], s[36:37], v[176:177]
	v_fma_f64 v[88:89], v[62:63], v[88:89], -v[24:25]
	s_wait_loadcnt 0x1
	v_mul_f64_e32 v[24:25], v[60:61], v[42:43]
	s_delay_alu instid0(VALU_DEP_1) | instskip(SKIP_1) | instid1(VALU_DEP_1)
	v_fma_f64 v[90:91], v[44:45], v[40:41], v[24:25]
	v_mul_f64_e32 v[24:25], v[44:45], v[42:43]
	v_fma_f64 v[92:93], v[60:61], v[40:41], -v[24:25]
	s_clause 0x1
	global_load_b128 v[40:43], v[36:37], off offset:192
	global_load_b128 v[114:117], v[36:37], off offset:208
	v_mul_f64_e32 v[24:25], v[28:29], v[96:97]
	s_delay_alu instid0(VALU_DEP_1) | instskip(SKIP_1) | instid1(VALU_DEP_2)
	v_fma_f64 v[60:61], v[16:17], v[94:95], v[24:25]
	v_mul_f64_e32 v[16:17], v[16:17], v[96:97]
	v_add_f64_e64 v[170:171], v[86:87], -v[60:61]
	s_delay_alu instid0(VALU_DEP_2) | instskip(NEXT) | instid1(VALU_DEP_2)
	v_fma_f64 v[62:63], v[28:29], v[94:95], -v[16:17]
	v_mul_f64_e32 v[202:203], s[20:21], v[170:171]
	s_delay_alu instid0(VALU_DEP_2) | instskip(NEXT) | instid1(VALU_DEP_1)
	v_add_f64_e64 v[172:173], v[88:89], -v[62:63]
	v_mul_f64_e32 v[204:205], s[20:21], v[172:173]
	s_wait_loadcnt 0x1
	v_mul_f64_e32 v[16:17], v[30:31], v[42:43]
	s_delay_alu instid0(VALU_DEP_1) | instskip(SKIP_1) | instid1(VALU_DEP_2)
	v_fma_f64 v[94:95], v[18:19], v[40:41], v[16:17]
	v_mul_f64_e32 v[16:17], v[18:19], v[42:43]
	v_add_f64_e64 v[166:167], v[90:91], -v[94:95]
	s_delay_alu instid0(VALU_DEP_2) | instskip(SKIP_1) | instid1(VALU_DEP_3)
	v_fma_f64 v[96:97], v[30:31], v[40:41], -v[16:17]
	v_mul_f64_e32 v[16:17], v[34:35], v[48:49]
	v_mul_f64_e32 v[198:199], s[38:39], v[166:167]
	s_delay_alu instid0(VALU_DEP_3) | instskip(NEXT) | instid1(VALU_DEP_3)
	v_add_f64_e64 v[168:169], v[92:93], -v[96:97]
	v_fma_f64 v[102:103], v[22:23], v[46:47], v[16:17]
	v_mul_f64_e32 v[16:17], v[22:23], v[48:49]
	s_delay_alu instid0(VALU_DEP_3) | instskip(NEXT) | instid1(VALU_DEP_2)
	v_mul_f64_e32 v[200:201], s[38:39], v[168:169]
	v_fma_f64 v[106:107], v[34:35], v[46:47], -v[16:17]
	s_clause 0x1
	global_load_b128 v[16:19], v[36:37], off offset:16
	global_load_b128 v[22:25], v[36:37], off
	s_wait_loadcnt 0x1
	v_mul_f64_e32 v[28:29], v[32:33], v[18:19]
	v_mul_f64_e32 v[18:19], v[20:21], v[18:19]
	s_delay_alu instid0(VALU_DEP_2) | instskip(NEXT) | instid1(VALU_DEP_2)
	v_fma_f64 v[110:111], v[20:21], v[16:17], v[28:29]
	v_fma_f64 v[112:113], v[32:33], v[16:17], -v[18:19]
	s_clause 0x1
	global_load_b128 v[16:19], v[36:37], off offset:240
	global_load_b128 v[28:31], v[36:37], off offset:224
	s_wait_loadcnt 0x1
	v_mul_f64_e32 v[20:21], v[38:39], v[18:19]
	v_mul_f64_e32 v[18:19], v[26:27], v[18:19]
	s_delay_alu instid0(VALU_DEP_2) | instskip(NEXT) | instid1(VALU_DEP_2)
	v_fma_f64 v[98:99], v[26:27], v[16:17], v[20:21]
	v_fma_f64 v[100:101], v[38:39], v[16:17], -v[18:19]
	v_mul_f64_e32 v[16:17], v[12:13], v[116:117]
	s_delay_alu instid0(VALU_DEP_1) | instskip(SKIP_1) | instid1(VALU_DEP_2)
	v_fma_f64 v[104:105], v[4:5], v[114:115], v[16:17]
	v_mul_f64_e32 v[4:5], v[4:5], v[116:117]
	v_add_f64_e64 v[162:163], v[102:103], -v[104:105]
	s_delay_alu instid0(VALU_DEP_2) | instskip(SKIP_2) | instid1(VALU_DEP_2)
	v_fma_f64 v[108:109], v[12:13], v[114:115], -v[4:5]
	s_wait_loadcnt 0x0
	v_mul_f64_e32 v[4:5], v[14:15], v[30:31]
	v_add_f64_e64 v[164:165], v[106:107], -v[108:109]
	s_delay_alu instid0(VALU_DEP_2) | instskip(SKIP_1) | instid1(VALU_DEP_3)
	v_fma_f64 v[114:115], v[6:7], v[28:29], v[4:5]
	v_mul_f64_e32 v[4:5], v[6:7], v[30:31]
	v_mul_f64_e32 v[196:197], s[16:17], v[164:165]
	s_delay_alu instid0(VALU_DEP_3) | instskip(NEXT) | instid1(VALU_DEP_3)
	v_add_f64_e64 v[158:159], v[110:111], -v[114:115]
	v_fma_f64 v[116:117], v[14:15], v[28:29], -v[4:5]
	v_mul_f64_e32 v[4:5], v[10:11], v[24:25]
	s_delay_alu instid0(VALU_DEP_2) | instskip(NEXT) | instid1(VALU_DEP_2)
	v_add_f64_e64 v[160:161], v[112:113], -v[116:117]
	v_fma_f64 v[4:5], v[2:3], v[22:23], v[4:5]
	v_mul_f64_e32 v[2:3], v[2:3], v[24:25]
	s_delay_alu instid0(VALU_DEP_3) | instskip(NEXT) | instid1(VALU_DEP_3)
	v_mul_f64_e32 v[190:191], s[34:35], v[160:161]
	v_add_f64_e64 v[6:7], v[4:5], -v[98:99]
	s_delay_alu instid0(VALU_DEP_3) | instskip(SKIP_1) | instid1(VALU_DEP_3)
	v_fma_f64 v[2:3], v[10:11], v[22:23], -v[2:3]
	v_add_f64_e32 v[130:131], v[0:1], v[4:5]
	v_mul_f64_e32 v[10:11], s[18:19], v[6:7]
	v_mul_f64_e32 v[12:13], s[16:17], v[6:7]
	;; [unrolled: 1-line block ×8, first 2 shown]
	v_add_f64_e32 v[24:25], v[2:3], v[100:101]
	s_wait_dscnt 0x0
	v_add_f64_e32 v[120:121], v[8:9], v[2:3]
	v_add_f64_e64 v[2:3], v[2:3], -v[100:101]
	s_delay_alu instid0(VALU_DEP_3)
	v_fma_f64 v[26:27], v[24:25], s[6:7], v[10:11]
	v_fma_f64 v[10:11], v[24:25], s[6:7], -v[10:11]
	v_fma_f64 v[28:29], v[24:25], s[4:5], v[12:13]
	v_fma_f64 v[12:13], v[24:25], s[4:5], -v[12:13]
	;; [unrolled: 2-line block ×8, first 2 shown]
	v_add_f64_e32 v[126:127], v[8:9], v[26:27]
	v_add_f64_e32 v[10:11], v[8:9], v[10:11]
	;; [unrolled: 1-line block ×16, first 2 shown]
	v_mul_f64_e32 v[8:9], s[16:17], v[2:3]
	v_mul_f64_e32 v[18:19], s[22:23], v[2:3]
	v_add_f64_e32 v[34:35], v[4:5], v[98:99]
	v_mul_f64_e32 v[6:7], s[18:19], v[2:3]
	v_mul_f64_e32 v[14:15], s[20:21], v[2:3]
	v_mul_f64_e32 v[22:23], s[24:25], v[2:3]
	v_mul_f64_e32 v[26:27], s[26:27], v[2:3]
	v_mul_f64_e32 v[30:31], s[28:29], v[2:3]
	v_mul_f64_e32 v[2:3], s[40:41], v[2:3]
	v_fma_f64 v[42:43], v[34:35], s[4:5], -v[8:9]
	v_fma_f64 v[8:9], v[34:35], s[4:5], v[8:9]
	v_fma_f64 v[124:125], v[34:35], s[0:1], v[18:19]
	v_fma_f64 v[38:39], v[34:35], s[6:7], -v[6:7]
	v_fma_f64 v[6:7], v[34:35], s[6:7], v[6:7]
	v_fma_f64 v[46:47], v[34:35], s[2:3], -v[14:15]
	;; [unrolled: 2-line block ×3, first 2 shown]
	v_fma_f64 v[128:129], v[34:35], s[10:11], -v[22:23]
	v_fma_f64 v[132:133], v[34:35], s[10:11], v[22:23]
	v_fma_f64 v[134:135], v[34:35], s[12:13], -v[26:27]
	v_fma_f64 v[136:137], v[34:35], s[12:13], v[26:27]
	;; [unrolled: 2-line block ×4, first 2 shown]
	v_add_f64_e32 v[194:195], v[0:1], v[42:43]
	v_add_f64_e32 v[14:15], v[0:1], v[8:9]
	;; [unrolled: 1-line block ×4, first 2 shown]
	v_mul_f64_e32 v[8:9], s[34:35], v[158:159]
	v_add_f64_e32 v[4:5], v[0:1], v[38:39]
	v_add_f64_e32 v[6:7], v[0:1], v[6:7]
	;; [unrolled: 1-line block ×15, first 2 shown]
	v_fma_f64 v[0:1], v[124:125], s[30:31], v[8:9]
	v_fma_f64 v[8:9], v[124:125], s[30:31], -v[8:9]
	s_delay_alu instid0(VALU_DEP_3) | instskip(NEXT) | instid1(VALU_DEP_3)
	v_add_f64_e32 v[106:107], v[106:107], v[112:113]
	v_add_f64_e32 v[0:1], v[0:1], v[126:127]
	;; [unrolled: 1-line block ×3, first 2 shown]
	s_delay_alu instid0(VALU_DEP_4) | instskip(SKIP_1) | instid1(VALU_DEP_3)
	v_add_f64_e32 v[8:9], v[8:9], v[10:11]
	v_add_f64_e32 v[110:111], v[110:111], v[130:131]
	v_fma_f64 v[2:3], v[126:127], s[30:31], -v[190:191]
	v_fma_f64 v[10:11], v[126:127], s[30:31], v[190:191]
	v_mul_f64_e32 v[190:191], s[36:37], v[158:159]
	s_delay_alu instid0(VALU_DEP_3) | instskip(SKIP_1) | instid1(VALU_DEP_4)
	v_add_f64_e32 v[2:3], v[2:3], v[4:5]
	v_mul_f64_e32 v[4:5], s[16:17], v[162:163]
	v_add_f64_e32 v[6:7], v[10:11], v[6:7]
	v_fma_f64 v[10:11], v[154:155], s[10:11], v[218:219]
	s_delay_alu instid0(VALU_DEP_3) | instskip(SKIP_1) | instid1(VALU_DEP_2)
	v_fma_f64 v[132:133], v[128:129], s[4:5], v[4:5]
	v_fma_f64 v[4:5], v[128:129], s[4:5], -v[4:5]
	v_add_f64_e32 v[0:1], v[132:133], v[0:1]
	v_add_f64_e32 v[132:133], v[102:103], v[104:105]
	s_delay_alu instid0(VALU_DEP_3) | instskip(SKIP_1) | instid1(VALU_DEP_3)
	v_add_f64_e32 v[4:5], v[4:5], v[8:9]
	v_add_f64_e32 v[102:103], v[102:103], v[110:111]
	v_fma_f64 v[134:135], v[132:133], s[4:5], -v[196:197]
	v_fma_f64 v[8:9], v[132:133], s[4:5], v[196:197]
	s_delay_alu instid0(VALU_DEP_2) | instskip(SKIP_1) | instid1(VALU_DEP_3)
	v_add_f64_e32 v[2:3], v[134:135], v[2:3]
	v_add_f64_e32 v[134:135], v[92:93], v[96:97]
	v_add_f64_e32 v[6:7], v[8:9], v[6:7]
	v_add_f64_e32 v[92:93], v[92:93], v[106:107]
	s_delay_alu instid0(VALU_DEP_3) | instskip(SKIP_1) | instid1(VALU_DEP_2)
	v_fma_f64 v[136:137], v[134:135], s[14:15], v[198:199]
	v_fma_f64 v[8:9], v[134:135], s[14:15], -v[198:199]
	v_add_f64_e32 v[0:1], v[136:137], v[0:1]
	v_add_f64_e32 v[136:137], v[90:91], v[94:95]
	s_delay_alu instid0(VALU_DEP_3) | instskip(SKIP_1) | instid1(VALU_DEP_3)
	v_add_f64_e32 v[4:5], v[8:9], v[4:5]
	v_add_f64_e32 v[90:91], v[90:91], v[102:103]
	v_fma_f64 v[138:139], v[136:137], s[14:15], -v[200:201]
	v_fma_f64 v[8:9], v[136:137], s[14:15], v[200:201]
	s_delay_alu instid0(VALU_DEP_2) | instskip(SKIP_1) | instid1(VALU_DEP_3)
	v_add_f64_e32 v[2:3], v[138:139], v[2:3]
	v_add_f64_e32 v[138:139], v[88:89], v[62:63]
	v_add_f64_e32 v[6:7], v[8:9], v[6:7]
	v_add_f64_e32 v[88:89], v[88:89], v[92:93]
	;; [unrolled: 15-line block ×4, first 2 shown]
	v_add_f64_e32 v[64:65], v[82:83], v[66:67]
	s_delay_alu instid0(VALU_DEP_4) | instskip(SKIP_1) | instid1(VALU_DEP_4)
	v_fma_f64 v[150:151], v[148:149], s[0:1], v[210:211]
	v_fma_f64 v[8:9], v[148:149], s[0:1], -v[210:211]
	v_add_f64_e32 v[54:55], v[68:69], v[54:55]
	s_delay_alu instid0(VALU_DEP_4) | instskip(NEXT) | instid1(VALU_DEP_4)
	v_add_f64_e32 v[64:65], v[78:79], v[64:65]
	v_add_f64_e32 v[0:1], v[150:151], v[0:1]
	;; [unrolled: 1-line block ×6, first 2 shown]
	s_delay_alu instid0(VALU_DEP_4) | instskip(SKIP_1) | instid1(VALU_DEP_4)
	v_fma_f64 v[152:153], v[150:151], s[0:1], -v[212:213]
	v_fma_f64 v[8:9], v[150:151], s[0:1], v[212:213]
	v_add_f64_e32 v[54:55], v[56:57], v[54:55]
	s_delay_alu instid0(VALU_DEP_4) | instskip(NEXT) | instid1(VALU_DEP_4)
	v_add_f64_e32 v[52:53], v[52:53], v[64:65]
	v_add_f64_e32 v[214:215], v[152:153], v[2:3]
	;; [unrolled: 1-line block ×6, first 2 shown]
	s_delay_alu instid0(VALU_DEP_4)
	v_fma_f64 v[6:7], v[152:153], s[10:11], -v[216:217]
	v_fma_f64 v[2:3], v[152:153], s[10:11], v[216:217]
	v_mul_f64_e32 v[216:217], s[22:23], v[182:183]
	v_add_f64_e32 v[54:55], v[62:63], v[54:55]
	v_add_f64_e32 v[52:53], v[60:61], v[52:53]
	;; [unrolled: 1-line block ×4, first 2 shown]
	v_fma_f64 v[8:9], v[124:125], s[12:13], v[190:191]
	v_fma_f64 v[190:191], v[124:125], s[12:13], -v[190:191]
	v_add_f64_e32 v[2:3], v[2:3], v[0:1]
	v_fma_f64 v[0:1], v[154:155], s[10:11], -v[218:219]
	v_mul_f64_e32 v[218:219], s[22:23], v[184:185]
	v_add_f64_e32 v[54:55], v[96:97], v[54:55]
	v_add_f64_e32 v[52:53], v[94:95], v[52:53]
	;; [unrolled: 1-line block ×3, first 2 shown]
	v_mul_f64_e32 v[192:193], s[36:37], v[160:161]
	v_add_f64_e32 v[12:13], v[190:191], v[12:13]
	v_add_f64_e32 v[0:1], v[0:1], v[214:215]
	;; [unrolled: 1-line block ×4, first 2 shown]
	v_fma_f64 v[10:11], v[126:127], s[12:13], -v[192:193]
	v_fma_f64 v[190:191], v[126:127], s[12:13], v[192:193]
	v_fma_f64 v[192:193], v[154:155], s[0:1], v[218:219]
	v_add_f64_e32 v[54:55], v[116:117], v[54:55]
	v_add_f64_e32 v[52:53], v[114:115], v[52:53]
	;; [unrolled: 1-line block ×3, first 2 shown]
	v_mul_f64_e32 v[194:195], s[24:25], v[162:163]
	v_add_f64_e32 v[14:15], v[190:191], v[14:15]
	v_add_f64_e32 v[54:55], v[100:101], v[54:55]
	;; [unrolled: 1-line block ×3, first 2 shown]
	s_delay_alu instid0(VALU_DEP_4) | instskip(SKIP_1) | instid1(VALU_DEP_2)
	v_fma_f64 v[196:197], v[128:129], s[10:11], v[194:195]
	v_fma_f64 v[190:191], v[128:129], s[10:11], -v[194:195]
	v_add_f64_e32 v[8:9], v[196:197], v[8:9]
	v_mul_f64_e32 v[196:197], s[24:25], v[164:165]
	s_delay_alu instid0(VALU_DEP_3) | instskip(NEXT) | instid1(VALU_DEP_2)
	v_add_f64_e32 v[12:13], v[190:191], v[12:13]
	v_fma_f64 v[198:199], v[132:133], s[10:11], -v[196:197]
	v_fma_f64 v[190:191], v[132:133], s[10:11], v[196:197]
	s_delay_alu instid0(VALU_DEP_2) | instskip(SKIP_1) | instid1(VALU_DEP_3)
	v_add_f64_e32 v[10:11], v[198:199], v[10:11]
	v_mul_f64_e32 v[198:199], s[46:47], v[166:167]
	v_add_f64_e32 v[14:15], v[190:191], v[14:15]
	s_delay_alu instid0(VALU_DEP_2) | instskip(SKIP_1) | instid1(VALU_DEP_2)
	v_fma_f64 v[200:201], v[134:135], s[2:3], v[198:199]
	v_fma_f64 v[190:191], v[134:135], s[2:3], -v[198:199]
	v_add_f64_e32 v[8:9], v[200:201], v[8:9]
	v_mul_f64_e32 v[200:201], s[46:47], v[168:169]
	s_delay_alu instid0(VALU_DEP_3) | instskip(NEXT) | instid1(VALU_DEP_2)
	v_add_f64_e32 v[12:13], v[190:191], v[12:13]
	v_fma_f64 v[202:203], v[136:137], s[2:3], -v[200:201]
	v_fma_f64 v[190:191], v[136:137], s[2:3], v[200:201]
	s_delay_alu instid0(VALU_DEP_2) | instskip(SKIP_1) | instid1(VALU_DEP_3)
	v_add_f64_e32 v[10:11], v[202:203], v[10:11]
	v_mul_f64_e32 v[202:203], s[40:41], v[170:171]
	v_add_f64_e32 v[14:15], v[190:191], v[14:15]
	s_delay_alu instid0(VALU_DEP_2) | instskip(SKIP_1) | instid1(VALU_DEP_2)
	;; [unrolled: 13-line block ×4, first 2 shown]
	v_fma_f64 v[212:213], v[148:149], s[14:15], v[210:211]
	v_fma_f64 v[190:191], v[148:149], s[14:15], -v[210:211]
	v_add_f64_e32 v[8:9], v[212:213], v[8:9]
	v_mul_f64_e32 v[212:213], s[38:39], v[180:181]
	s_delay_alu instid0(VALU_DEP_3) | instskip(NEXT) | instid1(VALU_DEP_2)
	v_add_f64_e32 v[12:13], v[190:191], v[12:13]
	v_fma_f64 v[190:191], v[150:151], s[14:15], v[212:213]
	v_fma_f64 v[214:215], v[150:151], s[14:15], -v[212:213]
	s_delay_alu instid0(VALU_DEP_2) | instskip(SKIP_1) | instid1(VALU_DEP_3)
	v_add_f64_e32 v[190:191], v[190:191], v[14:15]
	v_fma_f64 v[14:15], v[152:153], s[0:1], -v[216:217]
	v_add_f64_e32 v[214:215], v[214:215], v[10:11]
	v_fma_f64 v[10:11], v[152:153], s[0:1], v[216:217]
	v_mul_f64_e32 v[216:217], s[36:37], v[182:183]
	s_delay_alu instid0(VALU_DEP_4)
	v_add_f64_e32 v[14:15], v[14:15], v[12:13]
	v_add_f64_e32 v[12:13], v[192:193], v[190:191]
	v_mul_f64_e32 v[190:191], s[44:45], v[158:159]
	v_add_f64_e32 v[10:11], v[10:11], v[8:9]
	v_fma_f64 v[8:9], v[154:155], s[0:1], -v[218:219]
	v_mul_f64_e32 v[218:219], s[36:37], v[184:185]
	s_delay_alu instid0(VALU_DEP_4) | instskip(SKIP_1) | instid1(VALU_DEP_4)
	v_fma_f64 v[192:193], v[124:125], s[0:1], v[190:191]
	v_fma_f64 v[190:191], v[124:125], s[0:1], -v[190:191]
	v_add_f64_e32 v[8:9], v[8:9], v[214:215]
	s_delay_alu instid0(VALU_DEP_3) | instskip(SKIP_1) | instid1(VALU_DEP_4)
	v_add_f64_e32 v[16:17], v[192:193], v[16:17]
	v_mul_f64_e32 v[192:193], s[44:45], v[160:161]
	v_add_f64_e32 v[20:21], v[190:191], v[20:21]
	s_delay_alu instid0(VALU_DEP_2) | instskip(SKIP_2) | instid1(VALU_DEP_3)
	v_fma_f64 v[194:195], v[126:127], s[0:1], -v[192:193]
	v_fma_f64 v[190:191], v[126:127], s[0:1], v[192:193]
	v_fma_f64 v[192:193], v[154:155], s[12:13], v[218:219]
	v_add_f64_e32 v[18:19], v[194:195], v[18:19]
	v_mul_f64_e32 v[194:195], s[40:41], v[162:163]
	s_delay_alu instid0(VALU_DEP_4) | instskip(NEXT) | instid1(VALU_DEP_2)
	v_add_f64_e32 v[22:23], v[190:191], v[22:23]
	v_fma_f64 v[196:197], v[128:129], s[30:31], v[194:195]
	v_fma_f64 v[190:191], v[128:129], s[30:31], -v[194:195]
	s_delay_alu instid0(VALU_DEP_2) | instskip(SKIP_1) | instid1(VALU_DEP_3)
	v_add_f64_e32 v[16:17], v[196:197], v[16:17]
	v_mul_f64_e32 v[196:197], s[40:41], v[164:165]
	v_add_f64_e32 v[20:21], v[190:191], v[20:21]
	s_delay_alu instid0(VALU_DEP_2) | instskip(SKIP_1) | instid1(VALU_DEP_2)
	v_fma_f64 v[198:199], v[132:133], s[30:31], -v[196:197]
	v_fma_f64 v[190:191], v[132:133], s[30:31], v[196:197]
	v_add_f64_e32 v[18:19], v[198:199], v[18:19]
	v_mul_f64_e32 v[198:199], s[16:17], v[166:167]
	s_delay_alu instid0(VALU_DEP_3) | instskip(NEXT) | instid1(VALU_DEP_2)
	v_add_f64_e32 v[22:23], v[190:191], v[22:23]
	v_fma_f64 v[200:201], v[134:135], s[4:5], v[198:199]
	v_fma_f64 v[190:191], v[134:135], s[4:5], -v[198:199]
	s_delay_alu instid0(VALU_DEP_2) | instskip(SKIP_1) | instid1(VALU_DEP_3)
	v_add_f64_e32 v[16:17], v[200:201], v[16:17]
	v_mul_f64_e32 v[200:201], s[16:17], v[168:169]
	v_add_f64_e32 v[20:21], v[190:191], v[20:21]
	s_delay_alu instid0(VALU_DEP_2) | instskip(SKIP_1) | instid1(VALU_DEP_2)
	v_fma_f64 v[202:203], v[136:137], s[4:5], -v[200:201]
	v_fma_f64 v[190:191], v[136:137], s[4:5], v[200:201]
	v_add_f64_e32 v[18:19], v[202:203], v[18:19]
	v_mul_f64_e32 v[202:203], s[42:43], v[170:171]
	s_delay_alu instid0(VALU_DEP_3) | instskip(NEXT) | instid1(VALU_DEP_2)
	;; [unrolled: 13-line block ×4, first 2 shown]
	v_add_f64_e32 v[22:23], v[190:191], v[22:23]
	v_fma_f64 v[212:213], v[148:149], s[6:7], v[210:211]
	v_fma_f64 v[190:191], v[148:149], s[6:7], -v[210:211]
	s_delay_alu instid0(VALU_DEP_2) | instskip(SKIP_1) | instid1(VALU_DEP_3)
	v_add_f64_e32 v[16:17], v[212:213], v[16:17]
	v_mul_f64_e32 v[212:213], s[18:19], v[180:181]
	v_add_f64_e32 v[20:21], v[190:191], v[20:21]
	s_delay_alu instid0(VALU_DEP_2) | instskip(SKIP_1) | instid1(VALU_DEP_2)
	v_fma_f64 v[190:191], v[150:151], s[6:7], v[212:213]
	v_fma_f64 v[214:215], v[150:151], s[6:7], -v[212:213]
	v_add_f64_e32 v[190:191], v[190:191], v[22:23]
	v_fma_f64 v[22:23], v[152:153], s[12:13], -v[216:217]
	s_delay_alu instid0(VALU_DEP_3) | instskip(SKIP_2) | instid1(VALU_DEP_4)
	v_add_f64_e32 v[214:215], v[214:215], v[18:19]
	v_fma_f64 v[18:19], v[152:153], s[12:13], v[216:217]
	v_mul_f64_e32 v[216:217], s[20:21], v[182:183]
	v_add_f64_e32 v[22:23], v[22:23], v[20:21]
	v_add_f64_e32 v[20:21], v[192:193], v[190:191]
	v_mul_f64_e32 v[190:191], s[48:49], v[158:159]
	v_add_f64_e32 v[18:19], v[18:19], v[16:17]
	v_fma_f64 v[16:17], v[154:155], s[12:13], -v[218:219]
	v_mul_f64_e32 v[218:219], s[20:21], v[184:185]
	s_delay_alu instid0(VALU_DEP_4) | instskip(SKIP_1) | instid1(VALU_DEP_4)
	v_fma_f64 v[192:193], v[124:125], s[4:5], v[190:191]
	v_fma_f64 v[190:191], v[124:125], s[4:5], -v[190:191]
	v_add_f64_e32 v[16:17], v[16:17], v[214:215]
	s_delay_alu instid0(VALU_DEP_3) | instskip(SKIP_1) | instid1(VALU_DEP_4)
	v_add_f64_e32 v[24:25], v[192:193], v[24:25]
	v_mul_f64_e32 v[192:193], s[48:49], v[160:161]
	v_add_f64_e32 v[28:29], v[190:191], v[28:29]
	s_delay_alu instid0(VALU_DEP_2) | instskip(SKIP_2) | instid1(VALU_DEP_3)
	v_fma_f64 v[194:195], v[126:127], s[4:5], -v[192:193]
	v_fma_f64 v[190:191], v[126:127], s[4:5], v[192:193]
	v_fma_f64 v[192:193], v[154:155], s[2:3], v[218:219]
	v_add_f64_e32 v[26:27], v[194:195], v[26:27]
	v_mul_f64_e32 v[194:195], s[38:39], v[162:163]
	s_delay_alu instid0(VALU_DEP_4) | instskip(NEXT) | instid1(VALU_DEP_2)
	v_add_f64_e32 v[30:31], v[190:191], v[30:31]
	v_fma_f64 v[196:197], v[128:129], s[14:15], v[194:195]
	v_fma_f64 v[190:191], v[128:129], s[14:15], -v[194:195]
	s_delay_alu instid0(VALU_DEP_2) | instskip(SKIP_1) | instid1(VALU_DEP_3)
	v_add_f64_e32 v[24:25], v[196:197], v[24:25]
	v_mul_f64_e32 v[196:197], s[38:39], v[164:165]
	v_add_f64_e32 v[28:29], v[190:191], v[28:29]
	s_delay_alu instid0(VALU_DEP_2) | instskip(SKIP_1) | instid1(VALU_DEP_2)
	v_fma_f64 v[198:199], v[132:133], s[14:15], -v[196:197]
	v_fma_f64 v[190:191], v[132:133], s[14:15], v[196:197]
	v_add_f64_e32 v[26:27], v[198:199], v[26:27]
	v_mul_f64_e32 v[198:199], s[26:27], v[166:167]
	s_delay_alu instid0(VALU_DEP_3) | instskip(NEXT) | instid1(VALU_DEP_2)
	v_add_f64_e32 v[30:31], v[190:191], v[30:31]
	v_fma_f64 v[200:201], v[134:135], s[12:13], v[198:199]
	v_fma_f64 v[190:191], v[134:135], s[12:13], -v[198:199]
	s_delay_alu instid0(VALU_DEP_2) | instskip(SKIP_1) | instid1(VALU_DEP_3)
	v_add_f64_e32 v[24:25], v[200:201], v[24:25]
	v_mul_f64_e32 v[200:201], s[26:27], v[168:169]
	v_add_f64_e32 v[28:29], v[190:191], v[28:29]
	s_delay_alu instid0(VALU_DEP_2) | instskip(SKIP_1) | instid1(VALU_DEP_2)
	v_fma_f64 v[202:203], v[136:137], s[12:13], -v[200:201]
	v_fma_f64 v[190:191], v[136:137], s[12:13], v[200:201]
	v_add_f64_e32 v[26:27], v[202:203], v[26:27]
	v_mul_f64_e32 v[202:203], s[18:19], v[170:171]
	s_delay_alu instid0(VALU_DEP_3) | instskip(NEXT) | instid1(VALU_DEP_2)
	;; [unrolled: 13-line block ×3, first 2 shown]
	v_add_f64_e32 v[30:31], v[190:191], v[30:31]
	v_fma_f64 v[208:209], v[142:143], s[10:11], v[206:207]
	v_fma_f64 v[190:191], v[142:143], s[10:11], -v[206:207]
	s_delay_alu instid0(VALU_DEP_2) | instskip(SKIP_1) | instid1(VALU_DEP_3)
	v_add_f64_e32 v[24:25], v[208:209], v[24:25]
	v_mul_f64_e32 v[208:209], s[42:43], v[176:177]
	v_add_f64_e32 v[28:29], v[190:191], v[28:29]
	s_mov_b32 s43, 0x3fc7851a
	s_mov_b32 s42, s18
	s_delay_alu instid0(VALU_DEP_2) | instskip(SKIP_1) | instid1(VALU_DEP_2)
	v_fma_f64 v[210:211], v[146:147], s[10:11], -v[208:209]
	v_fma_f64 v[190:191], v[146:147], s[10:11], v[208:209]
	v_add_f64_e32 v[26:27], v[210:211], v[26:27]
	v_mul_f64_e32 v[210:211], s[40:41], v[178:179]
	s_delay_alu instid0(VALU_DEP_3) | instskip(NEXT) | instid1(VALU_DEP_2)
	v_add_f64_e32 v[30:31], v[190:191], v[30:31]
	v_fma_f64 v[212:213], v[148:149], s[30:31], v[210:211]
	v_fma_f64 v[190:191], v[148:149], s[30:31], -v[210:211]
	s_delay_alu instid0(VALU_DEP_2) | instskip(SKIP_1) | instid1(VALU_DEP_3)
	v_add_f64_e32 v[24:25], v[212:213], v[24:25]
	v_mul_f64_e32 v[212:213], s[40:41], v[180:181]
	v_add_f64_e32 v[28:29], v[190:191], v[28:29]
	s_delay_alu instid0(VALU_DEP_2) | instskip(SKIP_1) | instid1(VALU_DEP_2)
	v_fma_f64 v[190:191], v[150:151], s[30:31], v[212:213]
	v_fma_f64 v[214:215], v[150:151], s[30:31], -v[212:213]
	v_add_f64_e32 v[190:191], v[190:191], v[30:31]
	v_fma_f64 v[30:31], v[152:153], s[2:3], -v[216:217]
	s_delay_alu instid0(VALU_DEP_3) | instskip(SKIP_2) | instid1(VALU_DEP_4)
	v_add_f64_e32 v[214:215], v[214:215], v[26:27]
	v_fma_f64 v[26:27], v[152:153], s[2:3], v[216:217]
	v_mul_f64_e32 v[216:217], s[38:39], v[182:183]
	v_add_f64_e32 v[30:31], v[30:31], v[28:29]
	v_add_f64_e32 v[28:29], v[192:193], v[190:191]
	v_mul_f64_e32 v[190:191], s[18:19], v[158:159]
	v_add_f64_e32 v[26:27], v[26:27], v[24:25]
	v_fma_f64 v[24:25], v[154:155], s[2:3], -v[218:219]
	v_mul_f64_e32 v[218:219], s[38:39], v[184:185]
	s_delay_alu instid0(VALU_DEP_4) | instskip(SKIP_1) | instid1(VALU_DEP_4)
	v_fma_f64 v[192:193], v[124:125], s[6:7], v[190:191]
	v_fma_f64 v[190:191], v[124:125], s[6:7], -v[190:191]
	v_add_f64_e32 v[24:25], v[24:25], v[214:215]
	s_delay_alu instid0(VALU_DEP_3) | instskip(SKIP_1) | instid1(VALU_DEP_4)
	v_add_f64_e32 v[32:33], v[192:193], v[32:33]
	v_mul_f64_e32 v[192:193], s[18:19], v[160:161]
	v_add_f64_e32 v[36:37], v[190:191], v[36:37]
	s_delay_alu instid0(VALU_DEP_2) | instskip(SKIP_2) | instid1(VALU_DEP_3)
	v_fma_f64 v[194:195], v[126:127], s[6:7], -v[192:193]
	v_fma_f64 v[190:191], v[126:127], s[6:7], v[192:193]
	v_fma_f64 v[192:193], v[154:155], s[14:15], v[218:219]
	v_add_f64_e32 v[34:35], v[194:195], v[34:35]
	v_mul_f64_e32 v[194:195], s[44:45], v[162:163]
	s_delay_alu instid0(VALU_DEP_4) | instskip(NEXT) | instid1(VALU_DEP_2)
	v_add_f64_e32 v[38:39], v[190:191], v[38:39]
	v_fma_f64 v[196:197], v[128:129], s[0:1], v[194:195]
	v_fma_f64 v[190:191], v[128:129], s[0:1], -v[194:195]
	s_delay_alu instid0(VALU_DEP_2) | instskip(SKIP_1) | instid1(VALU_DEP_3)
	v_add_f64_e32 v[32:33], v[196:197], v[32:33]
	v_mul_f64_e32 v[196:197], s[44:45], v[164:165]
	v_add_f64_e32 v[36:37], v[190:191], v[36:37]
	s_delay_alu instid0(VALU_DEP_2) | instskip(SKIP_1) | instid1(VALU_DEP_2)
	v_fma_f64 v[198:199], v[132:133], s[0:1], -v[196:197]
	v_fma_f64 v[190:191], v[132:133], s[0:1], v[196:197]
	v_add_f64_e32 v[34:35], v[198:199], v[34:35]
	v_mul_f64_e32 v[198:199], s[34:35], v[166:167]
	s_delay_alu instid0(VALU_DEP_3) | instskip(NEXT) | instid1(VALU_DEP_2)
	v_add_f64_e32 v[38:39], v[190:191], v[38:39]
	v_fma_f64 v[200:201], v[134:135], s[30:31], v[198:199]
	v_fma_f64 v[190:191], v[134:135], s[30:31], -v[198:199]
	s_delay_alu instid0(VALU_DEP_2) | instskip(SKIP_1) | instid1(VALU_DEP_3)
	v_add_f64_e32 v[32:33], v[200:201], v[32:33]
	v_mul_f64_e32 v[200:201], s[34:35], v[168:169]
	v_add_f64_e32 v[36:37], v[190:191], v[36:37]
	s_delay_alu instid0(VALU_DEP_2) | instskip(SKIP_1) | instid1(VALU_DEP_2)
	v_fma_f64 v[202:203], v[136:137], s[30:31], -v[200:201]
	v_fma_f64 v[190:191], v[136:137], s[30:31], v[200:201]
	v_add_f64_e32 v[34:35], v[202:203], v[34:35]
	v_mul_f64_e32 v[202:203], s[26:27], v[170:171]
	s_delay_alu instid0(VALU_DEP_3) | instskip(NEXT) | instid1(VALU_DEP_2)
	;; [unrolled: 13-line block ×4, first 2 shown]
	v_add_f64_e32 v[38:39], v[190:191], v[38:39]
	v_fma_f64 v[212:213], v[148:149], s[2:3], v[210:211]
	v_fma_f64 v[190:191], v[148:149], s[2:3], -v[210:211]
	s_delay_alu instid0(VALU_DEP_2) | instskip(SKIP_1) | instid1(VALU_DEP_3)
	v_add_f64_e32 v[32:33], v[212:213], v[32:33]
	v_mul_f64_e32 v[212:213], s[46:47], v[180:181]
	v_add_f64_e32 v[36:37], v[190:191], v[36:37]
	s_delay_alu instid0(VALU_DEP_2) | instskip(SKIP_1) | instid1(VALU_DEP_2)
	v_fma_f64 v[190:191], v[150:151], s[2:3], v[212:213]
	v_fma_f64 v[214:215], v[150:151], s[2:3], -v[212:213]
	v_add_f64_e32 v[190:191], v[190:191], v[38:39]
	v_fma_f64 v[38:39], v[152:153], s[14:15], -v[216:217]
	s_delay_alu instid0(VALU_DEP_3) | instskip(SKIP_2) | instid1(VALU_DEP_4)
	v_add_f64_e32 v[214:215], v[214:215], v[34:35]
	v_fma_f64 v[34:35], v[152:153], s[14:15], v[216:217]
	v_mul_f64_e32 v[216:217], s[16:17], v[182:183]
	v_add_f64_e32 v[38:39], v[38:39], v[36:37]
	v_add_f64_e32 v[36:37], v[192:193], v[190:191]
	v_mul_f64_e32 v[190:191], s[20:21], v[158:159]
	v_add_f64_e32 v[34:35], v[34:35], v[32:33]
	v_fma_f64 v[32:33], v[154:155], s[14:15], -v[218:219]
	v_mul_f64_e32 v[218:219], s[16:17], v[184:185]
	s_delay_alu instid0(VALU_DEP_4) | instskip(SKIP_1) | instid1(VALU_DEP_4)
	v_fma_f64 v[192:193], v[124:125], s[2:3], v[190:191]
	v_fma_f64 v[190:191], v[124:125], s[2:3], -v[190:191]
	v_add_f64_e32 v[32:33], v[32:33], v[214:215]
	s_delay_alu instid0(VALU_DEP_3) | instskip(SKIP_1) | instid1(VALU_DEP_4)
	v_add_f64_e32 v[40:41], v[192:193], v[40:41]
	v_mul_f64_e32 v[192:193], s[20:21], v[160:161]
	v_add_f64_e32 v[44:45], v[190:191], v[44:45]
	s_delay_alu instid0(VALU_DEP_2) | instskip(SKIP_2) | instid1(VALU_DEP_3)
	v_fma_f64 v[194:195], v[126:127], s[2:3], -v[192:193]
	v_fma_f64 v[190:191], v[126:127], s[2:3], v[192:193]
	v_fma_f64 v[192:193], v[154:155], s[4:5], v[218:219]
	v_add_f64_e32 v[42:43], v[194:195], v[42:43]
	s_wait_alu 0xfffe
	v_mul_f64_e32 v[194:195], s[42:43], v[162:163]
	s_delay_alu instid0(VALU_DEP_4) | instskip(NEXT) | instid1(VALU_DEP_2)
	v_add_f64_e32 v[46:47], v[190:191], v[46:47]
	v_fma_f64 v[196:197], v[128:129], s[6:7], v[194:195]
	v_fma_f64 v[190:191], v[128:129], s[6:7], -v[194:195]
	s_delay_alu instid0(VALU_DEP_2) | instskip(SKIP_1) | instid1(VALU_DEP_3)
	v_add_f64_e32 v[40:41], v[196:197], v[40:41]
	v_mul_f64_e32 v[196:197], s[42:43], v[164:165]
	v_add_f64_e32 v[44:45], v[190:191], v[44:45]
	s_delay_alu instid0(VALU_DEP_2) | instskip(SKIP_3) | instid1(VALU_DEP_4)
	v_fma_f64 v[198:199], v[132:133], s[6:7], -v[196:197]
	v_fma_f64 v[190:191], v[132:133], s[6:7], v[196:197]
	v_mul_f64_e32 v[196:197], s[34:35], v[184:185]
	v_mul_f64_e32 v[184:185], s[18:19], v[184:185]
	v_add_f64_e32 v[42:43], v[198:199], v[42:43]
	v_mul_f64_e32 v[198:199], s[44:45], v[166:167]
	v_add_f64_e32 v[46:47], v[190:191], v[46:47]
	s_delay_alu instid0(VALU_DEP_2) | instskip(SKIP_2) | instid1(VALU_DEP_3)
	v_fma_f64 v[200:201], v[134:135], s[0:1], v[198:199]
	v_fma_f64 v[190:191], v[134:135], s[0:1], -v[198:199]
	v_mul_f64_e32 v[198:199], s[36:37], v[178:179]
	v_add_f64_e32 v[40:41], v[200:201], v[40:41]
	v_mul_f64_e32 v[200:201], s[44:45], v[168:169]
	s_delay_alu instid0(VALU_DEP_4) | instskip(NEXT) | instid1(VALU_DEP_2)
	v_add_f64_e32 v[44:45], v[190:191], v[44:45]
	v_fma_f64 v[202:203], v[136:137], s[0:1], -v[200:201]
	v_fma_f64 v[190:191], v[136:137], s[0:1], v[200:201]
	v_mul_f64_e32 v[200:201], s[48:49], v[172:173]
	s_delay_alu instid0(VALU_DEP_3) | instskip(SKIP_1) | instid1(VALU_DEP_4)
	v_add_f64_e32 v[42:43], v[202:203], v[42:43]
	v_mul_f64_e32 v[202:203], s[38:39], v[170:171]
	v_add_f64_e32 v[46:47], v[190:191], v[46:47]
	s_delay_alu instid0(VALU_DEP_2) | instskip(SKIP_2) | instid1(VALU_DEP_3)
	v_fma_f64 v[204:205], v[138:139], s[14:15], v[202:203]
	v_fma_f64 v[190:191], v[138:139], s[14:15], -v[202:203]
	v_mul_f64_e32 v[202:203], s[44:45], v[174:175]
	v_add_f64_e32 v[40:41], v[204:205], v[40:41]
	v_mul_f64_e32 v[204:205], s[38:39], v[172:173]
	s_delay_alu instid0(VALU_DEP_4) | instskip(SKIP_1) | instid1(VALU_DEP_3)
	v_add_f64_e32 v[44:45], v[190:191], v[44:45]
	v_mul_f64_e32 v[172:173], s[22:23], v[172:173]
	v_fma_f64 v[206:207], v[140:141], s[14:15], -v[204:205]
	v_fma_f64 v[190:191], v[140:141], s[14:15], v[204:205]
	v_mul_f64_e32 v[204:205], s[18:19], v[168:169]
	v_mul_f64_e32 v[168:169], s[24:25], v[168:169]
	s_delay_alu instid0(VALU_DEP_4) | instskip(SKIP_4) | instid1(VALU_DEP_4)
	v_add_f64_e32 v[42:43], v[206:207], v[42:43]
	v_mul_f64_e32 v[206:207], s[40:41], v[174:175]
	v_add_f64_e32 v[46:47], v[190:191], v[46:47]
	v_mul_f64_e32 v[174:175], s[20:21], v[174:175]
	v_fma_f64 v[66:67], v[136:137], s[10:11], -v[168:169]
	v_fma_f64 v[208:209], v[142:143], s[30:31], v[206:207]
	v_fma_f64 v[190:191], v[142:143], s[30:31], -v[206:207]
	v_mul_f64_e32 v[206:207], s[48:49], v[170:171]
	v_mul_f64_e32 v[170:171], s[22:23], v[170:171]
	s_delay_alu instid0(VALU_DEP_4) | instskip(SKIP_2) | instid1(VALU_DEP_2)
	v_add_f64_e32 v[40:41], v[208:209], v[40:41]
	v_mul_f64_e32 v[208:209], s[40:41], v[176:177]
	v_add_f64_e32 v[44:45], v[190:191], v[44:45]
	v_fma_f64 v[210:211], v[146:147], s[30:31], -v[208:209]
	v_fma_f64 v[190:191], v[146:147], s[30:31], v[208:209]
	v_mul_f64_e32 v[208:209], s[20:21], v[164:165]
	v_mul_f64_e32 v[164:165], s[26:27], v[164:165]
	s_delay_alu instid0(VALU_DEP_4) | instskip(SKIP_2) | instid1(VALU_DEP_4)
	v_add_f64_e32 v[42:43], v[210:211], v[42:43]
	v_mul_f64_e32 v[210:211], s[24:25], v[178:179]
	v_add_f64_e32 v[46:47], v[190:191], v[46:47]
	v_fma_f64 v[62:63], v[132:133], s[12:13], -v[164:165]
	v_mul_f64_e32 v[178:179], s[16:17], v[178:179]
	s_delay_alu instid0(VALU_DEP_4) | instskip(SKIP_3) | instid1(VALU_DEP_4)
	v_fma_f64 v[212:213], v[148:149], s[10:11], v[210:211]
	v_fma_f64 v[190:191], v[148:149], s[10:11], -v[210:211]
	v_mul_f64_e32 v[210:211], s[18:19], v[166:167]
	v_mul_f64_e32 v[166:167], s[24:25], v[166:167]
	v_add_f64_e32 v[40:41], v[212:213], v[40:41]
	v_mul_f64_e32 v[212:213], s[24:25], v[180:181]
	v_add_f64_e32 v[44:45], v[190:191], v[44:45]
	s_delay_alu instid0(VALU_DEP_4) | instskip(NEXT) | instid1(VALU_DEP_3)
	v_fma_f64 v[64:65], v[134:135], s[10:11], v[166:167]
	v_fma_f64 v[214:215], v[150:151], s[10:11], -v[212:213]
	v_fma_f64 v[190:191], v[150:151], s[10:11], v[212:213]
	v_mul_f64_e32 v[212:213], s[24:25], v[158:159]
	s_delay_alu instid0(VALU_DEP_3) | instskip(SKIP_1) | instid1(VALU_DEP_4)
	v_add_f64_e32 v[214:215], v[214:215], v[42:43]
	v_fma_f64 v[42:43], v[152:153], s[4:5], v[216:217]
	v_add_f64_e32 v[190:191], v[190:191], v[46:47]
	v_fma_f64 v[46:47], v[152:153], s[4:5], -v[216:217]
	v_mul_f64_e32 v[216:217], s[20:21], v[162:163]
	v_mul_f64_e32 v[162:163], s[26:27], v[162:163]
	v_add_f64_e32 v[42:43], v[42:43], v[40:41]
	v_fma_f64 v[40:41], v[154:155], s[4:5], -v[218:219]
	v_add_f64_e32 v[46:47], v[46:47], v[44:45]
	v_add_f64_e32 v[44:45], v[192:193], v[190:191]
	v_fma_f64 v[190:191], v[124:125], s[10:11], -v[212:213]
	v_fma_f64 v[212:213], v[124:125], s[10:11], v[212:213]
	v_mul_f64_e32 v[192:193], s[44:45], v[176:177]
	v_mul_f64_e32 v[176:177], s[20:21], v[176:177]
	v_fma_f64 v[60:61], v[128:129], s[12:13], v[162:163]
	v_add_f64_e32 v[40:41], v[40:41], v[214:215]
	v_mul_f64_e32 v[214:215], s[24:25], v[160:161]
	v_mul_f64_e32 v[160:161], s[28:29], v[160:161]
	v_add_f64_e32 v[48:49], v[190:191], v[48:49]
	v_add_f64_e32 v[186:187], v[212:213], v[186:187]
	s_delay_alu instid0(VALU_DEP_4) | instskip(SKIP_2) | instid1(VALU_DEP_3)
	v_fma_f64 v[190:191], v[126:127], s[10:11], v[214:215]
	v_fma_f64 v[212:213], v[126:127], s[10:11], -v[214:215]
	v_fma_f64 v[58:59], v[126:127], s[14:15], -v[160:161]
	v_add_f64_e32 v[50:51], v[190:191], v[50:51]
	v_fma_f64 v[190:191], v[128:129], s[2:3], -v[216:217]
	s_delay_alu instid0(VALU_DEP_4) | instskip(SKIP_2) | instid1(VALU_DEP_4)
	v_add_f64_e32 v[188:189], v[212:213], v[188:189]
	v_fma_f64 v[212:213], v[128:129], s[2:3], v[216:217]
	v_add_f64_e32 v[58:59], v[58:59], v[122:123]
	v_add_f64_e32 v[48:49], v[190:191], v[48:49]
	v_fma_f64 v[190:191], v[132:133], s[2:3], v[208:209]
	v_fma_f64 v[208:209], v[132:133], s[2:3], -v[208:209]
	v_add_f64_e32 v[186:187], v[212:213], v[186:187]
	v_add_f64_e32 v[58:59], v[62:63], v[58:59]
	v_fma_f64 v[62:63], v[140:141], s[0:1], -v[172:173]
	v_add_f64_e32 v[50:51], v[190:191], v[50:51]
	v_fma_f64 v[190:191], v[134:135], s[6:7], -v[210:211]
	v_add_f64_e32 v[188:189], v[208:209], v[188:189]
	v_fma_f64 v[208:209], v[134:135], s[6:7], v[210:211]
	v_add_f64_e32 v[58:59], v[66:67], v[58:59]
	v_fma_f64 v[66:67], v[146:147], s[2:3], -v[176:177]
	v_add_f64_e32 v[48:49], v[190:191], v[48:49]
	v_fma_f64 v[190:191], v[136:137], s[6:7], v[204:205]
	v_fma_f64 v[204:205], v[136:137], s[6:7], -v[204:205]
	v_add_f64_e32 v[186:187], v[208:209], v[186:187]
	v_add_f64_e32 v[58:59], v[62:63], v[58:59]
	s_delay_alu instid0(VALU_DEP_4)
	v_add_f64_e32 v[50:51], v[190:191], v[50:51]
	v_fma_f64 v[190:191], v[138:139], s[4:5], -v[206:207]
	v_add_f64_e32 v[188:189], v[204:205], v[188:189]
	v_fma_f64 v[204:205], v[138:139], s[4:5], v[206:207]
	v_add_f64_e32 v[58:59], v[66:67], v[58:59]
	v_fma_f64 v[66:67], v[154:155], s[6:7], -v[184:185]
	v_add_f64_e32 v[48:49], v[190:191], v[48:49]
	v_fma_f64 v[190:191], v[140:141], s[4:5], v[200:201]
	v_fma_f64 v[200:201], v[140:141], s[4:5], -v[200:201]
	v_add_f64_e32 v[186:187], v[204:205], v[186:187]
	s_delay_alu instid0(VALU_DEP_3) | instskip(SKIP_1) | instid1(VALU_DEP_4)
	v_add_f64_e32 v[50:51], v[190:191], v[50:51]
	v_fma_f64 v[190:191], v[142:143], s[0:1], -v[202:203]
	v_add_f64_e32 v[188:189], v[200:201], v[188:189]
	v_fma_f64 v[200:201], v[142:143], s[0:1], v[202:203]
	s_delay_alu instid0(VALU_DEP_3) | instskip(SKIP_2) | instid1(VALU_DEP_4)
	v_add_f64_e32 v[48:49], v[190:191], v[48:49]
	v_fma_f64 v[190:191], v[146:147], s[0:1], v[192:193]
	v_fma_f64 v[192:193], v[146:147], s[0:1], -v[192:193]
	v_add_f64_e32 v[186:187], v[200:201], v[186:187]
	s_delay_alu instid0(VALU_DEP_3) | instskip(SKIP_1) | instid1(VALU_DEP_4)
	v_add_f64_e32 v[50:51], v[190:191], v[50:51]
	v_fma_f64 v[190:191], v[148:149], s[12:13], -v[198:199]
	v_add_f64_e32 v[188:189], v[192:193], v[188:189]
	v_fma_f64 v[192:193], v[148:149], s[12:13], v[198:199]
	s_delay_alu instid0(VALU_DEP_3) | instskip(SKIP_1) | instid1(VALU_DEP_3)
	v_add_f64_e32 v[48:49], v[190:191], v[48:49]
	v_mul_f64_e32 v[190:191], s[36:37], v[180:181]
	v_add_f64_e32 v[186:187], v[192:193], v[186:187]
	v_fma_f64 v[192:193], v[154:155], s[30:31], -v[196:197]
	v_mul_f64_e32 v[180:181], s[16:17], v[180:181]
	s_delay_alu instid0(VALU_DEP_4) | instskip(SKIP_1) | instid1(VALU_DEP_3)
	v_fma_f64 v[194:195], v[150:151], s[12:13], v[190:191]
	v_fma_f64 v[190:191], v[150:151], s[12:13], -v[190:191]
	v_fma_f64 v[62:63], v[150:151], s[4:5], -v[180:181]
	s_delay_alu instid0(VALU_DEP_3) | instskip(SKIP_1) | instid1(VALU_DEP_4)
	v_add_f64_e32 v[218:219], v[194:195], v[50:51]
	v_mul_f64_e32 v[194:195], s[34:35], v[182:183]
	v_add_f64_e32 v[190:191], v[190:191], v[188:189]
	v_mul_f64_e32 v[182:183], s[18:19], v[182:183]
	s_delay_alu instid0(VALU_DEP_3) | instskip(SKIP_1) | instid1(VALU_DEP_2)
	v_fma_f64 v[188:189], v[152:153], s[30:31], v[194:195]
	v_fma_f64 v[50:51], v[152:153], s[30:31], -v[194:195]
	v_add_f64_e32 v[188:189], v[188:189], v[186:187]
	v_add_f64_e32 v[186:187], v[192:193], v[190:191]
	v_mul_f64_e32 v[190:191], s[28:29], v[158:159]
	s_delay_alu instid0(VALU_DEP_4) | instskip(SKIP_1) | instid1(VALU_DEP_3)
	v_add_f64_e32 v[50:51], v[50:51], v[48:49]
	v_fma_f64 v[48:49], v[154:155], s[30:31], v[196:197]
	v_fma_f64 v[158:159], v[124:125], s[14:15], -v[190:191]
	v_fma_f64 v[56:57], v[124:125], s[14:15], v[190:191]
	s_delay_alu instid0(VALU_DEP_3) | instskip(NEXT) | instid1(VALU_DEP_3)
	v_add_f64_e32 v[48:49], v[48:49], v[218:219]
	v_add_f64_e32 v[144:145], v[158:159], v[144:145]
	v_fma_f64 v[158:159], v[126:127], s[14:15], v[160:161]
	s_delay_alu instid0(VALU_DEP_4) | instskip(NEXT) | instid1(VALU_DEP_2)
	v_add_f64_e32 v[56:57], v[56:57], v[118:119]
	v_add_f64_e32 v[156:157], v[158:159], v[156:157]
	v_fma_f64 v[158:159], v[128:129], s[12:13], -v[162:163]
	s_delay_alu instid0(VALU_DEP_3) | instskip(SKIP_1) | instid1(VALU_DEP_3)
	v_add_f64_e32 v[56:57], v[60:61], v[56:57]
	v_fma_f64 v[60:61], v[138:139], s[0:1], v[170:171]
	v_add_f64_e32 v[144:145], v[158:159], v[144:145]
	v_fma_f64 v[158:159], v[132:133], s[12:13], v[164:165]
	s_delay_alu instid0(VALU_DEP_4) | instskip(SKIP_1) | instid1(VALU_DEP_3)
	v_add_f64_e32 v[56:57], v[64:65], v[56:57]
	v_fma_f64 v[64:65], v[142:143], s[2:3], v[174:175]
	v_add_f64_e32 v[156:157], v[158:159], v[156:157]
	v_fma_f64 v[158:159], v[134:135], s[10:11], -v[166:167]
	s_delay_alu instid0(VALU_DEP_4) | instskip(SKIP_1) | instid1(VALU_DEP_3)
	v_add_f64_e32 v[56:57], v[60:61], v[56:57]
	v_fma_f64 v[60:61], v[148:149], s[4:5], v[178:179]
	v_add_f64_e32 v[144:145], v[158:159], v[144:145]
	v_fma_f64 v[158:159], v[136:137], s[10:11], v[168:169]
	s_delay_alu instid0(VALU_DEP_4) | instskip(SKIP_1) | instid1(VALU_DEP_3)
	v_add_f64_e32 v[56:57], v[64:65], v[56:57]
	v_fma_f64 v[64:65], v[152:153], s[6:7], v[182:183]
	v_add_f64_e32 v[156:157], v[158:159], v[156:157]
	v_fma_f64 v[158:159], v[138:139], s[0:1], -v[170:171]
	s_delay_alu instid0(VALU_DEP_4)
	v_add_f64_e32 v[56:57], v[60:61], v[56:57]
	v_add_f64_e32 v[60:61], v[62:63], v[58:59]
	v_add_co_u32 v62, vcc_lo, s8, v74
	s_wait_alu 0xfffd
	v_add_co_ci_u32_e32 v63, vcc_lo, s9, v75, vcc_lo
	v_add_f64_e32 v[144:145], v[158:159], v[144:145]
	v_fma_f64 v[158:159], v[140:141], s[0:1], v[172:173]
	v_add_f64_e32 v[58:59], v[64:65], v[56:57]
	v_add_f64_e32 v[56:57], v[66:67], v[60:61]
	v_lshlrev_b64_e32 v[60:61], 4, v[72:73]
	s_delay_alu instid0(VALU_DEP_1) | instskip(SKIP_1) | instid1(VALU_DEP_2)
	v_add_co_u32 v60, vcc_lo, v62, v60
	s_wait_alu 0xfffd
	v_add_co_ci_u32_e32 v61, vcc_lo, v63, v61, vcc_lo
	v_add_f64_e32 v[156:157], v[158:159], v[156:157]
	v_fma_f64 v[158:159], v[142:143], s[2:3], -v[174:175]
	s_delay_alu instid0(VALU_DEP_1) | instskip(SKIP_1) | instid1(VALU_DEP_1)
	v_add_f64_e32 v[144:145], v[158:159], v[144:145]
	v_fma_f64 v[158:159], v[146:147], s[2:3], v[176:177]
	v_add_f64_e32 v[156:157], v[158:159], v[156:157]
	v_fma_f64 v[158:159], v[148:149], s[4:5], -v[178:179]
	s_delay_alu instid0(VALU_DEP_1) | instskip(SKIP_1) | instid1(VALU_DEP_1)
	v_add_f64_e32 v[144:145], v[158:159], v[144:145]
	v_fma_f64 v[158:159], v[150:151], s[4:5], v[180:181]
	;; [unrolled: 5-line block ×3, first 2 shown]
	v_add_f64_e32 v[156:157], v[144:145], v[156:157]
	s_clause 0x10
	global_store_b128 v[60:61], v[48:51], off offset:512
	global_store_b128 v[60:61], v[44:47], off offset:768
	;; [unrolled: 1-line block ×14, first 2 shown]
	global_store_b128 v[60:61], v[52:55], off
	global_store_b128 v[60:61], v[156:159], off offset:256
	global_store_b128 v[60:61], v[56:59], off offset:4096
	s_nop 0
	s_sendmsg sendmsg(MSG_DEALLOC_VGPRS)
	s_endpgm
	.section	.rodata,"a",@progbits
	.p2align	6, 0x0
	.amdhsa_kernel fft_rtc_back_len272_factors_16_17_wgs_119_tpt_17_halfLds_dp_ip_CI_unitstride_sbrr_dirReg
		.amdhsa_group_segment_fixed_size 0
		.amdhsa_private_segment_fixed_size 0
		.amdhsa_kernarg_size 88
		.amdhsa_user_sgpr_count 2
		.amdhsa_user_sgpr_dispatch_ptr 0
		.amdhsa_user_sgpr_queue_ptr 0
		.amdhsa_user_sgpr_kernarg_segment_ptr 1
		.amdhsa_user_sgpr_dispatch_id 0
		.amdhsa_user_sgpr_private_segment_size 0
		.amdhsa_wavefront_size32 1
		.amdhsa_uses_dynamic_stack 0
		.amdhsa_enable_private_segment 0
		.amdhsa_system_sgpr_workgroup_id_x 1
		.amdhsa_system_sgpr_workgroup_id_y 0
		.amdhsa_system_sgpr_workgroup_id_z 0
		.amdhsa_system_sgpr_workgroup_info 0
		.amdhsa_system_vgpr_workitem_id 0
		.amdhsa_next_free_vgpr 220
		.amdhsa_next_free_sgpr 50
		.amdhsa_reserve_vcc 1
		.amdhsa_float_round_mode_32 0
		.amdhsa_float_round_mode_16_64 0
		.amdhsa_float_denorm_mode_32 3
		.amdhsa_float_denorm_mode_16_64 3
		.amdhsa_fp16_overflow 0
		.amdhsa_workgroup_processor_mode 1
		.amdhsa_memory_ordered 1
		.amdhsa_forward_progress 0
		.amdhsa_round_robin_scheduling 0
		.amdhsa_exception_fp_ieee_invalid_op 0
		.amdhsa_exception_fp_denorm_src 0
		.amdhsa_exception_fp_ieee_div_zero 0
		.amdhsa_exception_fp_ieee_overflow 0
		.amdhsa_exception_fp_ieee_underflow 0
		.amdhsa_exception_fp_ieee_inexact 0
		.amdhsa_exception_int_div_zero 0
	.end_amdhsa_kernel
	.text
.Lfunc_end0:
	.size	fft_rtc_back_len272_factors_16_17_wgs_119_tpt_17_halfLds_dp_ip_CI_unitstride_sbrr_dirReg, .Lfunc_end0-fft_rtc_back_len272_factors_16_17_wgs_119_tpt_17_halfLds_dp_ip_CI_unitstride_sbrr_dirReg
                                        ; -- End function
	.section	.AMDGPU.csdata,"",@progbits
; Kernel info:
; codeLenInByte = 9576
; NumSgprs: 52
; NumVgprs: 220
; ScratchSize: 0
; MemoryBound: 1
; FloatMode: 240
; IeeeMode: 1
; LDSByteSize: 0 bytes/workgroup (compile time only)
; SGPRBlocks: 6
; VGPRBlocks: 27
; NumSGPRsForWavesPerEU: 52
; NumVGPRsForWavesPerEU: 220
; Occupancy: 6
; WaveLimiterHint : 1
; COMPUTE_PGM_RSRC2:SCRATCH_EN: 0
; COMPUTE_PGM_RSRC2:USER_SGPR: 2
; COMPUTE_PGM_RSRC2:TRAP_HANDLER: 0
; COMPUTE_PGM_RSRC2:TGID_X_EN: 1
; COMPUTE_PGM_RSRC2:TGID_Y_EN: 0
; COMPUTE_PGM_RSRC2:TGID_Z_EN: 0
; COMPUTE_PGM_RSRC2:TIDIG_COMP_CNT: 0
	.text
	.p2alignl 7, 3214868480
	.fill 96, 4, 3214868480
	.type	__hip_cuid_3dca563fc0800374,@object ; @__hip_cuid_3dca563fc0800374
	.section	.bss,"aw",@nobits
	.globl	__hip_cuid_3dca563fc0800374
__hip_cuid_3dca563fc0800374:
	.byte	0                               ; 0x0
	.size	__hip_cuid_3dca563fc0800374, 1

	.ident	"AMD clang version 19.0.0git (https://github.com/RadeonOpenCompute/llvm-project roc-6.4.0 25133 c7fe45cf4b819c5991fe208aaa96edf142730f1d)"
	.section	".note.GNU-stack","",@progbits
	.addrsig
	.addrsig_sym __hip_cuid_3dca563fc0800374
	.amdgpu_metadata
---
amdhsa.kernels:
  - .args:
      - .actual_access:  read_only
        .address_space:  global
        .offset:         0
        .size:           8
        .value_kind:     global_buffer
      - .offset:         8
        .size:           8
        .value_kind:     by_value
      - .actual_access:  read_only
        .address_space:  global
        .offset:         16
        .size:           8
        .value_kind:     global_buffer
      - .actual_access:  read_only
        .address_space:  global
        .offset:         24
        .size:           8
        .value_kind:     global_buffer
      - .offset:         32
        .size:           8
        .value_kind:     by_value
      - .actual_access:  read_only
        .address_space:  global
        .offset:         40
        .size:           8
        .value_kind:     global_buffer
      - .actual_access:  read_only
        .address_space:  global
        .offset:         48
        .size:           8
        .value_kind:     global_buffer
      - .offset:         56
        .size:           4
        .value_kind:     by_value
      - .actual_access:  read_only
        .address_space:  global
        .offset:         64
        .size:           8
        .value_kind:     global_buffer
      - .actual_access:  read_only
        .address_space:  global
        .offset:         72
        .size:           8
        .value_kind:     global_buffer
      - .address_space:  global
        .offset:         80
        .size:           8
        .value_kind:     global_buffer
    .group_segment_fixed_size: 0
    .kernarg_segment_align: 8
    .kernarg_segment_size: 88
    .language:       OpenCL C
    .language_version:
      - 2
      - 0
    .max_flat_workgroup_size: 119
    .name:           fft_rtc_back_len272_factors_16_17_wgs_119_tpt_17_halfLds_dp_ip_CI_unitstride_sbrr_dirReg
    .private_segment_fixed_size: 0
    .sgpr_count:     52
    .sgpr_spill_count: 0
    .symbol:         fft_rtc_back_len272_factors_16_17_wgs_119_tpt_17_halfLds_dp_ip_CI_unitstride_sbrr_dirReg.kd
    .uniform_work_group_size: 1
    .uses_dynamic_stack: false
    .vgpr_count:     220
    .vgpr_spill_count: 0
    .wavefront_size: 32
    .workgroup_processor_mode: 1
amdhsa.target:   amdgcn-amd-amdhsa--gfx1201
amdhsa.version:
  - 1
  - 2
...

	.end_amdgpu_metadata
